;; amdgpu-corpus repo=ROCm/rocFFT kind=compiled arch=gfx1030 opt=O3
	.text
	.amdgcn_target "amdgcn-amd-amdhsa--gfx1030"
	.amdhsa_code_object_version 6
	.protected	bluestein_single_fwd_len1617_dim1_half_op_CI_CI ; -- Begin function bluestein_single_fwd_len1617_dim1_half_op_CI_CI
	.globl	bluestein_single_fwd_len1617_dim1_half_op_CI_CI
	.p2align	8
	.type	bluestein_single_fwd_len1617_dim1_half_op_CI_CI,@function
bluestein_single_fwd_len1617_dim1_half_op_CI_CI: ; @bluestein_single_fwd_len1617_dim1_half_op_CI_CI
; %bb.0:
	s_load_dwordx4 s[8:11], s[4:5], 0x28
	v_mul_u32_u24_e32 v1, 0x11c, v0
	v_mov_b32_e32 v21, 0
	s_mov_b32 s0, exec_lo
	v_lshrrev_b32_e32 v1, 16, v1
	v_add_nc_u32_e32 v20, s6, v1
	s_waitcnt lgkmcnt(0)
	v_cmpx_gt_u64_e64 s[8:9], v[20:21]
	s_cbranch_execz .LBB0_23
; %bb.1:
	s_clause 0x1
	s_load_dwordx4 s[0:3], s[4:5], 0x18
	s_load_dwordx2 s[6:7], s[4:5], 0x0
	v_mul_lo_u16 v1, 0xe7, v1
	v_sub_nc_u16 v9, v0, v1
	v_and_b32_e32 v43, 0xffff, v9
	v_lshlrev_b32_e32 v39, 2, v43
	s_waitcnt lgkmcnt(0)
	s_load_dwordx4 s[12:15], s[0:1], 0x0
	v_add_co_u32 v18, s0, s6, v39
	v_add_co_ci_u32_e64 v19, null, s7, 0, s0
	global_load_dword v45, v39, s[6:7]
	v_add_co_u32 v16, vcc_lo, 0x800, v18
	v_add_co_ci_u32_e32 v17, vcc_lo, 0, v19, vcc_lo
	v_add_co_u32 v4, vcc_lo, 0x1000, v18
	v_add_co_ci_u32_e32 v5, vcc_lo, 0, v19, vcc_lo
	s_clause 0x1
	global_load_dword v46, v[16:17], off offset:108
	global_load_dword v44, v[4:5], off offset:216
	s_waitcnt lgkmcnt(0)
	v_mad_u64_u32 v[0:1], null, s14, v20, 0
	v_mad_u64_u32 v[2:3], null, s12, v43, 0
	s_mul_i32 s1, s13, 0x21b
	s_mul_hi_u32 s9, s12, 0x21b
	s_mul_i32 s0, s12, 0x21b
	s_mul_i32 s14, s13, 0xfffffcb1
	s_add_i32 s1, s9, s1
	s_mul_i32 s8, s12, 0xfffffcb1
	v_mad_u64_u32 v[6:7], null, s15, v20, v[1:2]
	v_mad_u64_u32 v[7:8], null, s13, v43, v[3:4]
	s_mul_hi_u32 s13, s12, 0xfffffcb1
	s_sub_i32 s9, s13, s12
	s_lshl_b64 s[12:13], s[0:1], 2
	v_mov_b32_e32 v1, v6
	s_add_i32 s9, s9, s14
	v_mov_b32_e32 v3, v7
	s_lshl_b64 s[0:1], s[8:9], 2
	v_lshlrev_b64 v[0:1], 2, v[0:1]
	v_lshlrev_b64 v[2:3], 2, v[2:3]
	v_add_co_u32 v0, vcc_lo, s10, v0
	v_add_co_ci_u32_e32 v1, vcc_lo, s11, v1, vcc_lo
	v_add_co_u32 v0, vcc_lo, v0, v2
	v_add_co_ci_u32_e32 v1, vcc_lo, v1, v3, vcc_lo
	;; [unrolled: 2-line block ×3, first 2 shown]
	s_clause 0x1
	global_load_dword v8, v[0:1], off
	global_load_dword v10, v[2:3], off
	v_add_co_u32 v0, vcc_lo, v2, s12
	v_add_co_ci_u32_e32 v1, vcc_lo, s13, v3, vcc_lo
	v_add_co_u32 v2, vcc_lo, v0, s0
	v_add_co_ci_u32_e32 v3, vcc_lo, s1, v1, vcc_lo
	global_load_dword v11, v[0:1], off
	v_add_co_u32 v6, vcc_lo, v2, s12
	global_load_dword v2, v[2:3], off
	v_add_co_ci_u32_e32 v7, vcc_lo, s13, v3, vcc_lo
	v_add_co_u32 v0, vcc_lo, v6, s12
	v_add_co_ci_u32_e32 v1, vcc_lo, s13, v7, vcc_lo
	global_load_dword v42, v39, s[6:7] offset:924
	global_load_dword v3, v[6:7], off
	global_load_dword v6, v[0:1], off
	s_clause 0x1
	global_load_dword v41, v[16:17], off offset:1032
	global_load_dword v40, v[4:5], off offset:1140
	s_load_dwordx2 s[6:7], s[4:5], 0x38
	s_load_dwordx4 s[8:11], s[2:3], 0x0
	v_cmp_gt_u16_e32 vcc_lo, 0x4d, v9
	s_waitcnt vmcnt(8)
	v_lshrrev_b32_e32 v4, 16, v8
	v_mul_f16_sdwa v5, v45, v8 dst_sel:DWORD dst_unused:UNUSED_PAD src0_sel:WORD_1 src1_sel:DWORD
	s_waitcnt vmcnt(7)
	v_lshrrev_b32_e32 v12, 16, v10
	v_mul_f16_sdwa v7, v45, v4 dst_sel:DWORD dst_unused:UNUSED_PAD src0_sel:WORD_1 src1_sel:DWORD
	v_fma_f16 v4, v45, v4, -v5
	v_mul_f16_sdwa v5, v46, v10 dst_sel:DWORD dst_unused:UNUSED_PAD src0_sel:WORD_1 src1_sel:DWORD
	v_fmac_f16_e32 v7, v45, v8
	v_mul_f16_sdwa v8, v46, v12 dst_sel:DWORD dst_unused:UNUSED_PAD src0_sel:WORD_1 src1_sel:DWORD
	v_fma_f16 v5, v46, v12, -v5
	s_waitcnt vmcnt(6)
	v_lshrrev_b32_e32 v13, 16, v11
	v_mul_f16_sdwa v14, v44, v11 dst_sel:DWORD dst_unused:UNUSED_PAD src0_sel:WORD_1 src1_sel:DWORD
	v_pack_b32_f16 v4, v7, v4
	v_fmac_f16_e32 v8, v46, v10
	s_waitcnt vmcnt(5)
	v_lshrrev_b32_e32 v12, 16, v2
	v_mul_f16_sdwa v7, v44, v13 dst_sel:DWORD dst_unused:UNUSED_PAD src0_sel:WORD_1 src1_sel:DWORD
	v_fma_f16 v10, v44, v13, -v14
	s_waitcnt vmcnt(4)
	v_mul_f16_sdwa v13, v42, v2 dst_sel:DWORD dst_unused:UNUSED_PAD src0_sel:WORD_1 src1_sel:DWORD
	v_pack_b32_f16 v5, v8, v5
	s_waitcnt vmcnt(3)
	v_lshrrev_b32_e32 v8, 16, v3
	v_fmac_f16_e32 v7, v44, v11
	s_waitcnt vmcnt(2)
	v_lshrrev_b32_e32 v11, 16, v6
	v_mul_f16_sdwa v14, v42, v12 dst_sel:DWORD dst_unused:UNUSED_PAD src0_sel:WORD_1 src1_sel:DWORD
	v_fma_f16 v12, v42, v12, -v13
	s_waitcnt vmcnt(1)
	v_mul_f16_sdwa v13, v41, v3 dst_sel:DWORD dst_unused:UNUSED_PAD src0_sel:WORD_1 src1_sel:DWORD
	v_mul_f16_sdwa v15, v41, v8 dst_sel:DWORD dst_unused:UNUSED_PAD src0_sel:WORD_1 src1_sel:DWORD
	s_waitcnt vmcnt(0)
	v_mul_f16_sdwa v21, v40, v11 dst_sel:DWORD dst_unused:UNUSED_PAD src0_sel:WORD_1 src1_sel:DWORD
	v_mul_f16_sdwa v22, v40, v6 dst_sel:DWORD dst_unused:UNUSED_PAD src0_sel:WORD_1 src1_sel:DWORD
	v_fmac_f16_e32 v14, v42, v2
	v_fma_f16 v2, v41, v8, -v13
	v_fmac_f16_e32 v15, v41, v3
	v_fmac_f16_e32 v21, v40, v6
	v_fma_f16 v3, v40, v11, -v22
	ds_write_b32 v39, v5 offset:2156
	v_pack_b32_f16 v5, v7, v10
	v_pack_b32_f16 v6, v14, v12
	;; [unrolled: 1-line block ×4, first 2 shown]
	ds_write_b32 v39, v5 offset:4312
	ds_write2_b32 v39, v4, v6 offset1:231
	ds_write_b32 v39, v2 offset:3080
	ds_write_b32 v39, v3 offset:5236
	s_and_saveexec_b32 s2, vcc_lo
	s_cbranch_execz .LBB0_3
; %bb.2:
	v_add_co_u32 v0, s0, v0, s0
	v_add_co_ci_u32_e64 v1, s0, s1, v1, s0
	v_add_co_u32 v2, s0, v0, s12
	v_add_co_ci_u32_e64 v3, s0, s13, v1, s0
	;; [unrolled: 2-line block ×3, first 2 shown]
	global_load_dword v6, v[18:19], off offset:1848
	global_load_dword v7, v[0:1], off
	global_load_dword v2, v[2:3], off
	;; [unrolled: 1-line block ×3, first 2 shown]
	v_add_co_u32 v0, s0, 0x1800, v18
	v_add_co_ci_u32_e64 v1, s0, 0, v19, s0
	s_clause 0x1
	global_load_dword v4, v[16:17], off offset:1956
	global_load_dword v0, v[0:1], off offset:16
	s_waitcnt vmcnt(4)
	v_lshrrev_b32_e32 v1, 16, v7
	v_mul_f16_sdwa v5, v6, v7 dst_sel:DWORD dst_unused:UNUSED_PAD src0_sel:WORD_1 src1_sel:DWORD
	s_waitcnt vmcnt(3)
	v_lshrrev_b32_e32 v8, 16, v2
	s_waitcnt vmcnt(2)
	v_lshrrev_b32_e32 v9, 16, v3
	v_mul_f16_sdwa v10, v6, v1 dst_sel:DWORD dst_unused:UNUSED_PAD src0_sel:WORD_1 src1_sel:DWORD
	v_fma_f16 v1, v6, v1, -v5
	s_waitcnt vmcnt(1)
	v_mul_f16_sdwa v5, v4, v2 dst_sel:DWORD dst_unused:UNUSED_PAD src0_sel:WORD_1 src1_sel:DWORD
	v_mul_f16_sdwa v11, v4, v8 dst_sel:DWORD dst_unused:UNUSED_PAD src0_sel:WORD_1 src1_sel:DWORD
	s_waitcnt vmcnt(0)
	v_mul_f16_sdwa v12, v0, v9 dst_sel:DWORD dst_unused:UNUSED_PAD src0_sel:WORD_1 src1_sel:DWORD
	v_mul_f16_sdwa v13, v0, v3 dst_sel:DWORD dst_unused:UNUSED_PAD src0_sel:WORD_1 src1_sel:DWORD
	v_fmac_f16_e32 v10, v6, v7
	v_fma_f16 v5, v4, v8, -v5
	v_fmac_f16_e32 v11, v4, v2
	v_fmac_f16_e32 v12, v0, v3
	v_fma_f16 v0, v0, v9, -v13
	v_pack_b32_f16 v1, v10, v1
	v_pack_b32_f16 v2, v11, v5
	;; [unrolled: 1-line block ×3, first 2 shown]
	ds_write_b32 v39, v1 offset:1848
	ds_write_b32 v39, v2 offset:4004
	;; [unrolled: 1-line block ×3, first 2 shown]
.LBB0_3:
	s_or_b32 exec_lo, exec_lo, s2
	v_add_nc_u32_e32 v0, 0x840, v39
	v_add_nc_u32_e32 v1, 0x1080, v39
	s_waitcnt lgkmcnt(0)
	s_barrier
	buffer_gl0_inv
	ds_read2_b32 v[2:3], v39 offset1:231
	ds_read2_b32 v[4:5], v0 offset0:11 offset1:242
	ds_read2_b32 v[0:1], v1 offset0:22 offset1:253
	s_load_dwordx2 s[2:3], s[4:5], 0x8
                                        ; implicit-def: $vgpr7
                                        ; implicit-def: $vgpr8
                                        ; implicit-def: $vgpr6
	s_and_saveexec_b32 s0, vcc_lo
	s_cbranch_execz .LBB0_5
; %bb.4:
	ds_read_b32 v7, v39 offset:1848
	ds_read_b32 v8, v39 offset:4004
	;; [unrolled: 1-line block ×3, first 2 shown]
.LBB0_5:
	s_or_b32 exec_lo, exec_lo, s0
	s_waitcnt lgkmcnt(0)
	v_pk_add_f16 v9, v8, v6
	v_pk_add_f16 v10, v8, v6 neg_lo:[0,1] neg_hi:[0,1]
	v_pk_add_f16 v13, v2, v4
	v_pk_add_f16 v21, v4, v0
	v_pk_add_f16 v4, v4, v0 neg_lo:[0,1] neg_hi:[0,1]
	v_pk_fma_f16 v9, v9, 0.5, v7 op_sel_hi:[1,0,1] neg_lo:[1,0,0] neg_hi:[1,0,0]
	v_pk_mul_f16 v10, 0x3aee, v10 op_sel_hi:[0,1]
	v_pk_add_f16 v14, v3, v5
	v_add_nc_u32_e32 v11, 0xe7, v43
	v_mul_lo_u16 v15, v43, 3
	v_pk_fma_f16 v2, v21, 0.5, v2 op_sel_hi:[1,0,1] neg_lo:[1,0,0] neg_hi:[1,0,0]
	v_pk_add_f16 v30, v9, v10 op_sel:[0,1] op_sel_hi:[1,0]
	v_pk_add_f16 v31, v9, v10 op_sel:[0,1] op_sel_hi:[1,0] neg_lo:[0,1] neg_hi:[0,1]
	v_pk_add_f16 v10, v5, v1
	v_pk_add_f16 v5, v5, v1 neg_lo:[0,1] neg_hi:[0,1]
	v_mov_b32_e32 v9, 2
	v_pk_mul_f16 v4, 0x3aee, v4 op_sel_hi:[0,1]
	v_add_co_u32 v12, null, 0x1ce, v43
	v_pk_fma_f16 v3, v10, 0.5, v3 op_sel_hi:[1,0,1] neg_lo:[1,0,0] neg_hi:[1,0,0]
	v_pk_mul_f16 v5, 0x3aee, v5 op_sel_hi:[0,1]
	v_lshlrev_b32_sdwa v47, v9, v15 dst_sel:DWORD dst_unused:UNUSED_PAD src0_sel:DWORD src1_sel:WORD_0
	v_pk_add_f16 v9, v2, v4 op_sel:[0,1] op_sel_hi:[1,0]
	v_pk_add_f16 v2, v2, v4 op_sel:[0,1] op_sel_hi:[1,0] neg_lo:[0,1] neg_hi:[0,1]
	v_mul_u32_u24_e32 v4, 3, v11
	v_pk_add_f16 v10, v3, v5 op_sel:[0,1] op_sel_hi:[1,0]
	v_pk_add_f16 v3, v3, v5 op_sel:[0,1] op_sel_hi:[1,0] neg_lo:[0,1] neg_hi:[0,1]
	v_lshrrev_b32_e32 v38, 16, v30
	v_pk_add_f16 v0, v13, v0
	v_bfi_b32 v5, 0xffff, v9, v2
	v_lshlrev_b32_e32 v49, 2, v4
	v_mul_u32_u24_e32 v48, 3, v12
	v_bfi_b32 v2, 0xffff, v2, v9
	v_pk_add_f16 v1, v14, v1
	v_bfi_b32 v4, 0xffff, v10, v3
	v_bfi_b32 v3, 0xffff, v3, v10
	s_barrier
	buffer_gl0_inv
	ds_write2_b32 v47, v0, v5 offset1:1
	ds_write_b32 v47, v2 offset:8
	ds_write2_b32 v49, v1, v4 offset1:1
	ds_write_b32 v49, v3 offset:8
	s_and_saveexec_b32 s0, vcc_lo
	s_cbranch_execz .LBB0_7
; %bb.6:
	v_pk_add_f16 v0, v7, v8
	v_lshlrev_b32_e32 v1, 2, v48
	v_bfi_b32 v2, 0xffff, v30, v31
	v_perm_b32 v3, v38, v31, 0x5040100
	v_pk_add_f16 v0, v0, v6
	ds_write_b32 v1, v0
	ds_write2_b32 v1, v2, v3 offset0:1 offset1:2
.LBB0_7:
	s_or_b32 exec_lo, exec_lo, s0
	v_and_b32_e32 v4, 0xff, v43
	s_waitcnt lgkmcnt(0)
	s_barrier
	buffer_gl0_inv
	v_add_nc_u32_e32 v13, 0x700, v39
	v_mul_lo_u16 v0, 0xab, v4
	v_mul_lo_u16 v4, 0x87, v4
	v_add_nc_u32_e32 v14, 0xe40, v39
	v_cmp_gt_u16_e64 s0, 0x93, v43
                                        ; implicit-def: $vgpr73
                                        ; implicit-def: $vgpr71
                                        ; implicit-def: $vgpr74
	v_lshrrev_b16 v10, 9, v0
	v_lshrrev_b16 v12, 8, v4
	v_mul_lo_u16 v0, v10, 3
	v_sub_nc_u16 v4, v43, v12
	v_sub_nc_u16 v0, v43, v0
	v_lshrrev_b16 v6, 1, v4
	v_and_b32_e32 v11, 0xff, v0
	v_and_b32_e32 v21, 0x7f, v6
	v_mul_u32_u24_e32 v0, 6, v11
	v_add_nc_u16 v12, v21, v12
	v_mov_b32_e32 v21, 21
	v_lshlrev_b32_e32 v5, 2, v0
	v_lshrrev_b16 v12, 4, v12
	v_mul_u32_u24_sdwa v10, v10, v21 dst_sel:DWORD dst_unused:UNUSED_PAD src0_sel:WORD_0 src1_sel:DWORD
	s_clause 0x1
	global_load_dwordx4 v[0:3], v5, s[2:3]
	global_load_dwordx2 v[23:24], v5, s[2:3] offset:16
	ds_read2_b32 v[4:5], v39 offset1:231
	ds_read_b32 v15, v39 offset:5544
	ds_read2_b32 v[6:7], v13 offset0:14 offset1:245
	ds_read2_b32 v[8:9], v14 offset0:12 offset1:243
	v_and_b32_e32 v22, 15, v12
	v_add_lshl_u32 v50, v10, v11, 2
	s_waitcnt vmcnt(0) lgkmcnt(0)
	s_barrier
	buffer_gl0_inv
	v_mul_lo_u16 v25, v22, 21
	v_sub_nc_u16 v25, v43, v25
	v_and_b32_e32 v32, 0xff, v25
	v_lshrrev_b32_e32 v12, 16, v5
	v_lshrrev_b32_e32 v21, 16, v15
	;; [unrolled: 1-line block ×6, first 2 shown]
	v_mul_f16_sdwa v10, v12, v0 dst_sel:DWORD dst_unused:UNUSED_PAD src0_sel:DWORD src1_sel:WORD_1
	v_mul_f16_sdwa v11, v5, v0 dst_sel:DWORD dst_unused:UNUSED_PAD src0_sel:DWORD src1_sel:WORD_1
	;; [unrolled: 1-line block ×12, first 2 shown]
	v_fma_f16 v5, v5, v0, -v10
	v_fmac_f16_e32 v11, v12, v0
	v_fma_f16 v6, v6, v1, -v25
	v_fmac_f16_e32 v33, v26, v1
	;; [unrolled: 2-line block ×6, first 2 shown]
	v_add_f16_e32 v12, v5, v10
	v_add_f16_e32 v15, v11, v54
	v_sub_f16_e32 v5, v5, v10
	v_sub_f16_e32 v10, v11, v54
	v_add_f16_e32 v11, v6, v9
	v_add_f16_e32 v21, v33, v52
	v_sub_f16_e32 v6, v6, v9
	v_sub_f16_e32 v9, v33, v52
	;; [unrolled: 4-line block ×4, first 2 shown]
	v_sub_f16_e32 v12, v12, v25
	v_sub_f16_e32 v15, v15, v26
	;; [unrolled: 1-line block ×4, first 2 shown]
	v_add_f16_e32 v34, v7, v6
	v_add_f16_e32 v35, v8, v9
	v_sub_f16_e32 v36, v7, v6
	v_sub_f16_e32 v37, v8, v9
	;; [unrolled: 1-line block ×4, first 2 shown]
	v_add_f16_e32 v25, v25, v27
	v_add_f16_e32 v26, v26, v28
	v_sub_f16_e32 v7, v5, v7
	v_sub_f16_e32 v8, v10, v8
	v_add_f16_e32 v5, v34, v5
	v_add_f16_e32 v10, v35, v10
	v_mul_f16_e32 v12, 0x3a52, v12
	v_mul_f16_e32 v15, 0x3a52, v15
	;; [unrolled: 1-line block ×8, first 2 shown]
	v_add_f16_e32 v51, v4, v25
	v_add_f16_sdwa v4, v4, v26 dst_sel:DWORD dst_unused:UNUSED_PAD src0_sel:WORD_1 src1_sel:DWORD
	v_fmamk_f16 v11, v11, 0x2b26, v12
	v_fmamk_f16 v21, v21, 0x2b26, v15
	v_fma_f16 v27, v29, 0x39e0, -v27
	v_fma_f16 v28, v33, 0x39e0, -v28
	;; [unrolled: 1-line block ×4, first 2 shown]
	v_fmamk_f16 v29, v7, 0x3574, v34
	v_fmamk_f16 v33, v8, 0x3574, v35
	v_fma_f16 v6, v6, 0x3b00, -v34
	v_fma_f16 v9, v9, 0x3b00, -v35
	;; [unrolled: 1-line block ×4, first 2 shown]
	v_fmamk_f16 v25, v25, 0xbcab, v51
	v_fmamk_f16 v26, v26, 0xbcab, v4
	v_fmac_f16_e32 v29, 0x370e, v5
	v_fmac_f16_e32 v33, 0x370e, v10
	;; [unrolled: 1-line block ×6, first 2 shown]
	v_add_f16_e32 v5, v11, v25
	v_add_f16_e32 v10, v21, v26
	;; [unrolled: 1-line block ×7, first 2 shown]
	v_sub_f16_e32 v34, v11, v9
	v_add_f16_e32 v27, v8, v12
	v_sub_f16_e32 v28, v15, v7
	v_add_f16_e32 v35, v6, v21
	v_add_f16_e32 v9, v9, v11
	v_sub_f16_e32 v6, v21, v6
	v_sub_f16_e32 v8, v12, v8
	v_add_f16_e32 v7, v7, v15
	v_sub_f16_e32 v26, v10, v29
	v_sub_f16_e32 v5, v5, v33
	v_pack_b32_f16 v6, v9, v6
	v_add_f16_e32 v10, v29, v10
	v_pack_b32_f16 v7, v8, v7
	v_mad_u64_u32 v[8:9], null, v32, 24, s[2:3]
	v_pack_b32_f16 v4, v51, v4
	v_pack_b32_f16 v11, v25, v26
	;; [unrolled: 1-line block ×5, first 2 shown]
	ds_write2_b32 v50, v4, v11 offset1:3
	ds_write2_b32 v50, v12, v15 offset0:6 offset1:9
	ds_write2_b32 v50, v6, v7 offset0:12 offset1:15
	ds_write_b32 v50, v5 offset:72
	s_waitcnt lgkmcnt(0)
	s_barrier
	buffer_gl0_inv
	s_clause 0x1
	global_load_dwordx4 v[4:7], v[8:9], off offset:72
	global_load_dwordx2 v[25:26], v[8:9], off offset:88
	ds_read2_b32 v[8:9], v39 offset1:231
	ds_read2_b32 v[10:11], v13 offset0:14 offset1:245
	ds_read2_b32 v[12:13], v14 offset0:12 offset1:243
	ds_read_b32 v14, v39 offset:5544
	v_mov_b32_e32 v15, 0x93
	v_lshrrev_b32_e32 v52, 16, v31
	s_waitcnt vmcnt(0) lgkmcnt(0)
	s_barrier
	buffer_gl0_inv
	v_mul_u32_u24_sdwa v15, v22, v15 dst_sel:DWORD dst_unused:UNUSED_PAD src0_sel:WORD_0 src1_sel:DWORD
	v_add_lshl_u32 v51, v15, v32, 2
	v_lshrrev_b32_e32 v15, 16, v9
	v_lshrrev_b32_e32 v21, 16, v10
	;; [unrolled: 1-line block ×6, first 2 shown]
	v_mul_f16_sdwa v32, v15, v4 dst_sel:DWORD dst_unused:UNUSED_PAD src0_sel:DWORD src1_sel:WORD_1
	v_mul_f16_sdwa v33, v9, v4 dst_sel:DWORD dst_unused:UNUSED_PAD src0_sel:DWORD src1_sel:WORD_1
	;; [unrolled: 1-line block ×12, first 2 shown]
	v_fma_f16 v9, v9, v4, -v32
	v_fmac_f16_e32 v33, v15, v4
	v_fma_f16 v10, v10, v5, -v34
	v_fmac_f16_e32 v35, v21, v5
	;; [unrolled: 2-line block ×6, first 2 shown]
	v_add_f16_e32 v15, v9, v14
	v_add_f16_e32 v21, v33, v58
	;; [unrolled: 1-line block ×4, first 2 shown]
	v_sub_f16_e32 v9, v9, v14
	v_sub_f16_e32 v14, v33, v58
	;; [unrolled: 1-line block ×4, first 2 shown]
	v_add_f16_e32 v28, v11, v12
	v_add_f16_e32 v29, v37, v54
	v_sub_f16_e32 v11, v12, v11
	v_sub_f16_e32 v12, v54, v37
	v_add_f16_e32 v32, v22, v15
	v_add_f16_e32 v33, v27, v21
	v_sub_f16_e32 v34, v22, v15
	v_sub_f16_e32 v35, v27, v21
	;; [unrolled: 1-line block ×6, first 2 shown]
	v_add_f16_e32 v37, v12, v13
	v_sub_f16_e32 v53, v11, v10
	v_sub_f16_e32 v54, v12, v13
	;; [unrolled: 1-line block ×3, first 2 shown]
	v_add_f16_e32 v28, v28, v32
	v_add_f16_e32 v29, v29, v33
	;; [unrolled: 1-line block ×3, first 2 shown]
	v_sub_f16_e32 v10, v10, v9
	v_sub_f16_e32 v11, v9, v11
	;; [unrolled: 1-line block ×3, first 2 shown]
	v_add_f16_e32 v14, v37, v14
	v_mul_f16_e32 v15, 0x3a52, v15
	v_mul_f16_e32 v32, 0x3a52, v21
	;; [unrolled: 1-line block ×5, first 2 shown]
	v_add_f16_e32 v21, v8, v28
	v_add_f16_sdwa v37, v8, v29 dst_sel:DWORD dst_unused:UNUSED_PAD src0_sel:WORD_1 src1_sel:DWORD
	v_add_f16_e32 v9, v36, v9
	v_mul_f16_e32 v33, 0x2b26, v22
	v_mul_f16_e32 v36, 0x2b26, v27
	;; [unrolled: 1-line block ×3, first 2 shown]
	v_fmamk_f16 v8, v22, 0x2b26, v15
	v_fmamk_f16 v22, v27, 0x2b26, v32
	;; [unrolled: 1-line block ×4, first 2 shown]
	v_fma_f16 v13, v13, 0x3b00, -v54
	v_fma_f16 v12, v12, 0xb574, -v56
	v_fmamk_f16 v28, v28, 0xbcab, v21
	v_fmamk_f16 v29, v29, 0xbcab, v37
	v_fma_f16 v27, v34, 0x39e0, -v33
	v_fma_f16 v33, v35, 0x39e0, -v36
	v_fma_f16 v15, v34, 0xb9e0, -v15
	v_fma_f16 v32, v35, 0xb9e0, -v32
	v_fma_f16 v10, v10, 0x3b00, -v53
	v_fma_f16 v11, v11, 0xb574, -v55
	v_fmac_f16_e32 v57, 0x370e, v9
	v_fmac_f16_e32 v58, 0x370e, v14
	;; [unrolled: 1-line block ×4, first 2 shown]
	v_add_f16_e32 v8, v8, v28
	v_add_f16_e32 v14, v22, v29
	v_fmac_f16_e32 v10, 0x370e, v9
	v_fmac_f16_e32 v11, 0x370e, v9
	v_add_f16_e32 v27, v27, v28
	v_add_f16_e32 v15, v15, v28
	;; [unrolled: 1-line block ×5, first 2 shown]
	v_sub_f16_e32 v53, v14, v57
	v_add_f16_e32 v33, v12, v15
	v_sub_f16_e32 v54, v28, v11
	v_sub_f16_e32 v34, v27, v13
	v_add_f16_e32 v65, v10, v29
	v_add_f16_e32 v35, v13, v27
	v_sub_f16_e32 v68, v29, v10
	v_sub_f16_e32 v36, v15, v12
	v_add_f16_e32 v69, v11, v28
	v_sub_f16_e32 v29, v8, v58
	v_add_f16_e32 v70, v57, v14
	v_pack_b32_f16 v9, v21, v37
	v_pack_b32_f16 v8, v22, v53
	;; [unrolled: 1-line block ×7, first 2 shown]
	ds_write2_b32 v51, v9, v8 offset1:21
	ds_write2_b32 v51, v10, v11 offset0:42 offset1:63
	ds_write2_b32 v51, v12, v13 offset0:84 offset1:105
	ds_write_b32 v51, v14 offset:504
	s_waitcnt lgkmcnt(0)
	s_barrier
	buffer_gl0_inv
	s_and_saveexec_b32 s1, s0
	s_cbranch_execz .LBB0_9
; %bb.8:
	v_add_nc_u32_e32 v8, 0x400, v39
	v_add_nc_u32_e32 v9, 0x800, v39
	v_add_nc_u32_e32 v10, 0xd00, v39
	ds_read2_b32 v[21:22], v39 offset1:147
	ds_read2_b32 v[33:34], v8 offset0:38 offset1:185
	v_add_nc_u32_e32 v8, 0x1200, v39
	ds_read2_b32 v[35:36], v9 offset0:76 offset1:223
	ds_read2_b32 v[29:30], v10 offset0:50 offset1:197
	;; [unrolled: 1-line block ×3, first 2 shown]
	ds_read_b32 v71, v39 offset:5880
	s_waitcnt lgkmcnt(5)
	v_lshrrev_b32_e32 v37, 16, v21
	v_lshrrev_b32_e32 v53, 16, v22
	s_waitcnt lgkmcnt(4)
	v_lshrrev_b32_e32 v54, 16, v33
	v_lshrrev_b32_e32 v65, 16, v34
	;; [unrolled: 3-line block ×5, first 2 shown]
	s_waitcnt lgkmcnt(0)
	v_lshrrev_b32_e32 v74, 16, v71
.LBB0_9:
	s_or_b32 exec_lo, exec_lo, s1
	v_add_nc_u32_e32 v8, 0xffffff6d, v43
	v_cndmask_b32_e64 v8, v8, v43, s0
	v_mul_i32_i24_e32 v9, 40, v8
	v_mul_hi_i32_i24_e32 v8, 40, v8
	v_add_co_u32 v27, s1, s2, v9
	v_add_co_ci_u32_e64 v28, s1, s3, v8, s1
	s_clause 0x2
	global_load_dwordx4 v[12:15], v[27:28], off offset:576
	global_load_dwordx4 v[8:11], v[27:28], off offset:592
	global_load_dwordx2 v[27:28], v[27:28], off offset:608
	s_waitcnt vmcnt(2)
	v_mul_f16_sdwa v66, v53, v12 dst_sel:DWORD dst_unused:UNUSED_PAD src0_sel:DWORD src1_sel:WORD_1
	v_mul_f16_sdwa v64, v22, v12 dst_sel:DWORD dst_unused:UNUSED_PAD src0_sel:DWORD src1_sel:WORD_1
	s_waitcnt vmcnt(0)
	v_mul_f16_sdwa v82, v74, v28 dst_sel:DWORD dst_unused:UNUSED_PAD src0_sel:DWORD src1_sel:WORD_1
	v_mul_f16_sdwa v56, v71, v28 dst_sel:DWORD dst_unused:UNUSED_PAD src0_sel:DWORD src1_sel:WORD_1
	v_mul_f16_sdwa v67, v54, v13 dst_sel:DWORD dst_unused:UNUSED_PAD src0_sel:DWORD src1_sel:WORD_1
	v_mul_f16_sdwa v63, v33, v13 dst_sel:DWORD dst_unused:UNUSED_PAD src0_sel:DWORD src1_sel:WORD_1
	v_mul_f16_sdwa v75, v65, v14 dst_sel:DWORD dst_unused:UNUSED_PAD src0_sel:DWORD src1_sel:WORD_1
	v_mul_f16_sdwa v62, v34, v14 dst_sel:DWORD dst_unused:UNUSED_PAD src0_sel:DWORD src1_sel:WORD_1
	v_mul_f16_sdwa v76, v68, v15 dst_sel:DWORD dst_unused:UNUSED_PAD src0_sel:DWORD src1_sel:WORD_1
	v_mul_f16_sdwa v78, v70, v9 dst_sel:DWORD dst_unused:UNUSED_PAD src0_sel:DWORD src1_sel:WORD_1
	v_mul_f16_sdwa v79, v52, v10 dst_sel:DWORD dst_unused:UNUSED_PAD src0_sel:DWORD src1_sel:WORD_1
	v_mul_f16_sdwa v58, v30, v10 dst_sel:DWORD dst_unused:UNUSED_PAD src0_sel:DWORD src1_sel:WORD_1
	v_mul_f16_sdwa v80, v38, v11 dst_sel:DWORD dst_unused:UNUSED_PAD src0_sel:DWORD src1_sel:WORD_1
	v_mul_f16_sdwa v81, v73, v27 dst_sel:DWORD dst_unused:UNUSED_PAD src0_sel:DWORD src1_sel:WORD_1
	v_mul_f16_sdwa v55, v32, v27 dst_sel:DWORD dst_unused:UNUSED_PAD src0_sel:DWORD src1_sel:WORD_1
	v_fma_f16 v72, v22, v12, -v66
	v_fmac_f16_e32 v64, v53, v12
	v_fma_f16 v22, v71, v28, -v82
	v_fmac_f16_e32 v56, v74, v28
	v_mul_f16_sdwa v61, v35, v15 dst_sel:DWORD dst_unused:UNUSED_PAD src0_sel:DWORD src1_sel:WORD_1
	v_mul_f16_sdwa v77, v69, v8 dst_sel:DWORD dst_unused:UNUSED_PAD src0_sel:DWORD src1_sel:WORD_1
	;; [unrolled: 1-line block ×5, first 2 shown]
	v_fma_f16 v67, v33, v13, -v67
	v_fmac_f16_e32 v63, v54, v13
	v_fma_f16 v66, v34, v14, -v75
	v_fmac_f16_e32 v62, v65, v14
	v_fma_f16 v65, v35, v15, -v76
	v_fma_f16 v34, v29, v9, -v78
	;; [unrolled: 1-line block ×3, first 2 shown]
	v_fmac_f16_e32 v58, v52, v10
	v_fma_f16 v29, v31, v11, -v80
	v_fma_f16 v31, v32, v27, -v81
	v_fmac_f16_e32 v55, v73, v27
	v_sub_f16_e32 v30, v72, v22
	v_sub_f16_e32 v52, v64, v56
	v_fmac_f16_e32 v61, v68, v15
	v_fma_f16 v35, v36, v8, -v77
	v_fmac_f16_e32 v60, v69, v8
	v_fmac_f16_e32 v59, v70, v9
	v_fmac_f16_e32 v57, v38, v11
	v_add_f16_e32 v80, v72, v22
	v_add_f16_e32 v81, v64, v56
	v_sub_f16_e32 v53, v67, v31
	v_sub_f16_e32 v54, v63, v55
	;; [unrolled: 1-line block ×3, first 2 shown]
	v_mul_f16_e32 v36, 0xb853, v52
	v_mul_f16_e32 v38, 0xb853, v30
	;; [unrolled: 1-line block ×10, first 2 shown]
	v_add_f16_e32 v87, v67, v31
	v_add_f16_e32 v88, v63, v55
	v_sub_f16_e32 v68, v62, v57
	v_sub_f16_e32 v69, v66, v29
	;; [unrolled: 1-line block ×5, first 2 shown]
	v_mul_f16_e32 v32, 0xbb47, v54
	v_mul_f16_e32 v75, 0xbb47, v53
	;; [unrolled: 1-line block ×15, first 2 shown]
	v_fmamk_f16 v30, v80, 0x3abb, v36
	v_fma_f16 v52, v81, 0x3abb, -v38
	v_fmamk_f16 v53, v80, 0x36a6, v92
	v_fma_f16 v54, v81, 0x36a6, -v94
	v_fmamk_f16 v71, v80, 0xb08e, v97
	v_fma_f16 v132, v81, 0xb08e, -v103
	v_fmamk_f16 v134, v80, 0xb93d, v112
	v_fma_f16 v136, v81, 0xb93d, -v121
	v_fmamk_f16 v138, v80, 0xbbad, v125
	v_fma_f16 v140, v81, 0xbbad, -v130
	v_add_f16_e32 v101, v66, v29
	v_add_f16_e32 v102, v62, v57
	v_mul_f16_e32 v76, 0xbbeb, v68
	v_mul_f16_e32 v78, 0xbbeb, v69
	;; [unrolled: 1-line block ×25, first 2 shown]
	v_fmamk_f16 v68, v87, 0x36a6, v32
	v_fma_f16 v69, v88, 0x36a6, -v75
	v_fmamk_f16 v70, v87, 0xb93d, v93
	v_fma_f16 v73, v88, 0xb93d, -v95
	;; [unrolled: 2-line block ×5, first 2 shown]
	v_add_f16_e32 v30, v21, v30
	v_add_f16_e32 v52, v37, v52
	;; [unrolled: 1-line block ×12, first 2 shown]
	v_fmamk_f16 v142, v101, 0xb08e, v76
	v_fma_f16 v143, v102, 0xb08e, -v78
	v_fmamk_f16 v144, v101, 0xbbad, v85
	v_fma_f16 v145, v102, 0xbbad, -v96
	v_fmamk_f16 v146, v101, 0x36a6, v99
	v_fma_f16 v147, v102, 0x36a6, -v105
	v_fmamk_f16 v148, v101, 0x3abb, v109
	v_fma_f16 v149, v102, 0x3abb, -v118
	v_fmamk_f16 v150, v101, 0xb93d, v122
	v_fma_f16 v151, v102, 0xb93d, -v127
	v_add_f16_e32 v30, v68, v30
	v_add_f16_e32 v52, v69, v52
	;; [unrolled: 1-line block ×12, first 2 shown]
	v_fmamk_f16 v152, v113, 0xb93d, v77
	v_fma_f16 v153, v114, 0xb93d, -v82
	v_fmamk_f16 v154, v113, 0xb08e, v86
	v_fma_f16 v155, v114, 0xb08e, -v90
	;; [unrolled: 2-line block ×5, first 2 shown]
	v_add_f16_e32 v30, v142, v30
	v_add_f16_e32 v52, v143, v52
	;; [unrolled: 1-line block ×10, first 2 shown]
	v_fmamk_f16 v162, v116, 0xbbad, v79
	v_fma_f16 v163, v117, 0xbbad, -v84
	v_fma_f16 v164, v117, 0x3abb, -v91
	v_fmamk_f16 v165, v116, 0xb93d, v83
	v_fma_f16 v166, v117, 0xb93d, -v107
	v_fmamk_f16 v167, v116, 0x36a6, v110
	;; [unrolled: 2-line block ×4, first 2 shown]
	v_add_f16_e32 v30, v152, v30
	v_add_f16_e32 v132, v153, v52
	;; [unrolled: 1-line block ×20, first 2 shown]
	s_and_saveexec_b32 s1, s0
	s_cbranch_execz .LBB0_11
; %bb.10:
	v_mul_f16_e32 v133, 0x3abb, v81
	v_mul_f16_e32 v135, 0x36a6, v81
	;; [unrolled: 1-line block ×10, first 2 shown]
	v_add_f16_e32 v81, v130, v81
	v_mul_f16_e32 v132, 0x3abb, v80
	v_mul_f16_e32 v134, 0x36a6, v80
	;; [unrolled: 1-line block ×10, first 2 shown]
	v_add_f16_e32 v81, v37, v81
	v_add_f16_e32 v88, v128, v88
	v_mul_f16_e32 v140, 0x36a6, v87
	v_mul_f16_e32 v142, 0xb93d, v87
	;; [unrolled: 1-line block ×10, first 2 shown]
	v_sub_f16_e32 v80, v80, v125
	v_add_f16_e32 v81, v88, v81
	v_add_f16_e32 v88, v127, v102
	;; [unrolled: 1-line block ×4, first 2 shown]
	v_mul_f16_e32 v148, 0xb08e, v101
	v_mul_f16_e32 v150, 0xbbad, v101
	;; [unrolled: 1-line block ×9, first 2 shown]
	v_add_f16_e32 v80, v21, v80
	v_sub_f16_e32 v87, v87, v123
	v_add_f16_e32 v81, v88, v81
	v_add_f16_e32 v88, v129, v114
	v_mul_f16_e32 v114, 0xb08e, v117
	v_add_f16_e32 v117, v121, v139
	v_add_f16_e32 v67, v72, v67
	;; [unrolled: 1-line block ×3, first 2 shown]
	v_mul_f16_e32 v156, 0xb93d, v113
	v_mul_f16_e32 v158, 0xb08e, v113
	;; [unrolled: 1-line block ×5, first 2 shown]
	v_add_f16_e32 v80, v87, v80
	v_sub_f16_e32 v87, v101, v122
	v_add_f16_e32 v81, v88, v81
	v_add_f16_e32 v88, v131, v114
	;; [unrolled: 1-line block ×7, first 2 shown]
	v_sub_f16_e32 v87, v113, v124
	v_sub_f16_e32 v112, v138, v112
	v_add_f16_e32 v81, v88, v81
	v_add_f16_e32 v88, v114, v101
	;; [unrolled: 1-line block ×3, first 2 shown]
	v_sub_f16_e32 v97, v136, v97
	v_sub_f16_e32 v92, v134, v92
	;; [unrolled: 1-line block ×3, first 2 shown]
	v_add_f16_e32 v65, v66, v65
	v_add_f16_e32 v61, v62, v61
	;; [unrolled: 1-line block ×13, first 2 shown]
	v_sub_f16_e32 v108, v146, v108
	v_add_f16_e32 v101, v37, v101
	v_add_f16_e32 v94, v37, v94
	;; [unrolled: 1-line block ×4, first 2 shown]
	v_sub_f16_e32 v32, v140, v32
	v_add_f16_e32 v34, v35, v34
	v_add_f16_e32 v35, v36, v59
	;; [unrolled: 1-line block ×4, first 2 shown]
	v_sub_f16_e32 v108, v154, v109
	v_add_f16_e32 v104, v104, v145
	v_sub_f16_e32 v98, v144, v98
	v_add_f16_e32 v95, v95, v143
	;; [unrolled: 2-line block ×3, first 2 shown]
	v_add_f16_e32 v38, v78, v149
	v_add_f16_e32 v21, v32, v21
	v_sub_f16_e32 v32, v148, v76
	v_add_f16_e32 v33, v34, v33
	v_add_f16_e32 v34, v35, v58
	v_mul_f16_e32 v130, 0xbbad, v116
	v_add_f16_e32 v88, v103, v88
	v_add_f16_e32 v87, v108, v87
	v_sub_f16_e32 v103, v162, v111
	v_add_f16_e32 v101, v104, v101
	v_add_f16_e32 v104, v105, v153
	v_add_f16_e32 v97, v98, v97
	v_sub_f16_e32 v98, v152, v99
	v_add_f16_e32 v94, v95, v94
	;; [unrolled: 4-line block ×4, first 2 shown]
	v_add_f16_e32 v33, v34, v57
	v_mul_f16_e32 v165, 0x3abb, v116
	v_mul_f16_e32 v128, 0xb93d, v116
	v_add_f16_e32 v87, v103, v87
	v_add_f16_e32 v101, v104, v101
	;; [unrolled: 1-line block ×4, first 2 shown]
	v_sub_f16_e32 v98, v160, v100
	v_add_f16_e32 v94, v95, v94
	v_add_f16_e32 v90, v90, v159
	;; [unrolled: 1-line block ×3, first 2 shown]
	v_sub_f16_e32 v63, v158, v86
	v_add_f16_e32 v34, v35, v36
	v_add_f16_e32 v35, v84, v164
	;; [unrolled: 1-line block ×5, first 2 shown]
	v_sub_f16_e32 v32, v130, v79
	v_mul_f16_e32 v168, 0x36a6, v116
	v_mul_f16_e32 v116, 0xb08e, v116
	v_add_f16_e32 v99, v103, v101
	v_add_f16_e32 v101, v107, v167
	;; [unrolled: 1-line block ×10, first 2 shown]
	v_sub_f16_e32 v31, v165, v89
	v_sub_f16_e32 v32, v128, v83
	;; [unrolled: 1-line block ×3, first 2 shown]
	v_add_f16_e32 v102, v120, v102
	v_sub_f16_e32 v104, v168, v110
	v_add_f16_e32 v96, v101, v99
	v_add_f16_e32 v35, v72, v64
	v_pack_b32_f16 v22, v22, v29
	v_pack_b32_f16 v21, v21, v34
	v_add_f16_e32 v29, v31, v33
	v_add_f16_e32 v31, v32, v97
	;; [unrolled: 1-line block ×5, first 2 shown]
	ds_write2_b32 v39, v22, v21 offset1:147
	v_pack_b32_f16 v21, v29, v35
	v_pack_b32_f16 v22, v31, v96
	v_add_nc_u32_e32 v29, 0x400, v39
	v_pack_b32_f16 v31, v33, v32
	v_pack_b32_f16 v32, v80, v81
	v_add_nc_u32_e32 v33, 0x800, v39
	v_perm_b32 v34, v74, v68, 0x5040100
	v_perm_b32 v35, v73, v69, 0x5040100
	v_add_nc_u32_e32 v36, 0xd00, v39
	v_perm_b32 v37, v71, v70, 0x5040100
	v_perm_b32 v38, v53, v30, 0x5040100
	v_add_nc_u32_e32 v55, 0x1200, v39
	v_perm_b32 v56, v54, v52, 0x5040100
	ds_write2_b32 v29, v21, v22 offset0:38 offset1:185
	ds_write2_b32 v33, v31, v32 offset0:76 offset1:223
	;; [unrolled: 1-line block ×4, first 2 shown]
	ds_write_b32 v39, v56 offset:5880
.LBB0_11:
	s_or_b32 exec_lo, exec_lo, s1
	v_add_co_u32 v21, s1, 0x1800, v18
	v_add_co_ci_u32_e64 v22, s1, 0, v19, s1
	s_waitcnt lgkmcnt(0)
	s_barrier
	buffer_gl0_inv
	global_load_dword v29, v[21:22], off offset:324
	v_add_co_u32 v33, s1, 0x2000, v18
	v_add_co_ci_u32_e64 v34, s1, 0, v19, s1
	v_add_co_u32 v35, s1, 0x2800, v18
	v_add_co_ci_u32_e64 v36, s1, 0, v19, s1
	;; [unrolled: 2-line block ×3, first 2 shown]
	s_clause 0x4
	global_load_dword v55, v[35:36], off offset:1464
	global_load_dword v56, v[33:34], off offset:1356
	;; [unrolled: 1-line block ×5, first 2 shown]
	ds_read2_b32 v[33:34], v39 offset1:231
	s_waitcnt lgkmcnt(0)
	v_lshrrev_b32_e32 v35, 16, v33
	v_lshrrev_b32_e32 v60, 16, v34
	s_waitcnt vmcnt(5)
	v_mul_f16_sdwa v36, v35, v29 dst_sel:DWORD dst_unused:UNUSED_PAD src0_sel:DWORD src1_sel:WORD_1
	v_mul_f16_sdwa v37, v33, v29 dst_sel:DWORD dst_unused:UNUSED_PAD src0_sel:DWORD src1_sel:WORD_1
	v_fma_f16 v33, v33, v29, -v36
	v_fmac_f16_e32 v37, v35, v29
	v_add_nc_u32_e32 v29, 0x840, v39
	v_pack_b32_f16 v35, v33, v37
	v_add_nc_u32_e32 v33, 0x1080, v39
	s_waitcnt vmcnt(2)
	v_mul_f16_sdwa v61, v60, v57 dst_sel:DWORD dst_unused:UNUSED_PAD src0_sel:DWORD src1_sel:WORD_1
	v_mul_f16_sdwa v62, v34, v57 dst_sel:DWORD dst_unused:UNUSED_PAD src0_sel:DWORD src1_sel:WORD_1
	ds_write_b32 v39, v35
	ds_read2_b32 v[35:36], v29 offset0:11 offset1:242
	ds_read2_b32 v[37:38], v33 offset0:22 offset1:253
	v_fma_f16 v34, v34, v57, -v61
	v_fmac_f16_e32 v62, v60, v57
	v_pack_b32_f16 v34, v34, v62
	s_waitcnt lgkmcnt(1)
	v_lshrrev_b32_e32 v57, 16, v35
	s_waitcnt vmcnt(1)
	v_mul_f16_sdwa v60, v35, v58 dst_sel:DWORD dst_unused:UNUSED_PAD src0_sel:DWORD src1_sel:WORD_1
	s_waitcnt lgkmcnt(0)
	v_lshrrev_b32_e32 v61, 16, v37
	s_waitcnt vmcnt(0)
	v_mul_f16_sdwa v63, v37, v59 dst_sel:DWORD dst_unused:UNUSED_PAD src0_sel:DWORD src1_sel:WORD_1
	v_lshrrev_b32_e32 v64, 16, v36
	v_mul_f16_sdwa v65, v36, v56 dst_sel:DWORD dst_unused:UNUSED_PAD src0_sel:DWORD src1_sel:WORD_1
	v_lshrrev_b32_e32 v66, 16, v38
	v_mul_f16_sdwa v72, v57, v58 dst_sel:DWORD dst_unused:UNUSED_PAD src0_sel:DWORD src1_sel:WORD_1
	v_fmac_f16_e32 v60, v57, v58
	v_mul_f16_sdwa v57, v61, v59 dst_sel:DWORD dst_unused:UNUSED_PAD src0_sel:DWORD src1_sel:WORD_1
	v_fmac_f16_e32 v63, v61, v59
	v_mul_f16_sdwa v61, v64, v56 dst_sel:DWORD dst_unused:UNUSED_PAD src0_sel:DWORD src1_sel:WORD_1
	v_mul_f16_sdwa v67, v38, v55 dst_sel:DWORD dst_unused:UNUSED_PAD src0_sel:DWORD src1_sel:WORD_1
	v_fmac_f16_e32 v65, v64, v56
	v_mul_f16_sdwa v64, v66, v55 dst_sel:DWORD dst_unused:UNUSED_PAD src0_sel:DWORD src1_sel:WORD_1
	v_fma_f16 v35, v35, v58, -v72
	v_fma_f16 v36, v36, v56, -v61
	v_fmac_f16_e32 v67, v66, v55
	v_fma_f16 v37, v37, v59, -v57
	v_fma_f16 v38, v38, v55, -v64
	v_pack_b32_f16 v35, v35, v60
	v_pack_b32_f16 v36, v36, v65
	;; [unrolled: 1-line block ×4, first 2 shown]
	ds_write_b32 v39, v34 offset:924
	ds_write2_b32 v29, v35, v36 offset0:11 offset1:242
	ds_write2_b32 v33, v37, v38 offset0:22 offset1:253
	s_and_saveexec_b32 s2, vcc_lo
	s_cbranch_execz .LBB0_13
; %bb.12:
	v_add_co_u32 v34, s1, 0x800, v31
	v_add_co_ci_u32_e64 v35, s1, 0, v32, s1
	global_load_dword v36, v[31:32], off offset:1848
	v_add_co_u32 v31, s1, 0x1800, v31
	v_add_co_ci_u32_e64 v32, s1, 0, v32, s1
	s_clause 0x1
	global_load_dword v34, v[34:35], off offset:1956
	global_load_dword v31, v[31:32], off offset:16
	ds_read_b32 v32, v39 offset:1848
	ds_read_b32 v35, v39 offset:4004
	;; [unrolled: 1-line block ×3, first 2 shown]
	s_waitcnt lgkmcnt(2)
	v_lshrrev_b32_e32 v38, 16, v32
	s_waitcnt lgkmcnt(1)
	v_lshrrev_b32_e32 v56, 16, v35
	;; [unrolled: 2-line block ×3, first 2 shown]
	s_waitcnt vmcnt(2)
	v_mul_f16_sdwa v55, v38, v36 dst_sel:DWORD dst_unused:UNUSED_PAD src0_sel:DWORD src1_sel:WORD_1
	v_mul_f16_sdwa v58, v32, v36 dst_sel:DWORD dst_unused:UNUSED_PAD src0_sel:DWORD src1_sel:WORD_1
	v_fma_f16 v32, v32, v36, -v55
	s_waitcnt vmcnt(1)
	v_mul_f16_sdwa v55, v56, v34 dst_sel:DWORD dst_unused:UNUSED_PAD src0_sel:DWORD src1_sel:WORD_1
	v_mul_f16_sdwa v59, v35, v34 dst_sel:DWORD dst_unused:UNUSED_PAD src0_sel:DWORD src1_sel:WORD_1
	s_waitcnt vmcnt(0)
	v_mul_f16_sdwa v60, v57, v31 dst_sel:DWORD dst_unused:UNUSED_PAD src0_sel:DWORD src1_sel:WORD_1
	v_mul_f16_sdwa v61, v37, v31 dst_sel:DWORD dst_unused:UNUSED_PAD src0_sel:DWORD src1_sel:WORD_1
	v_fmac_f16_e32 v58, v38, v36
	v_fma_f16 v35, v35, v34, -v55
	v_fmac_f16_e32 v59, v56, v34
	v_fma_f16 v34, v37, v31, -v60
	v_fmac_f16_e32 v61, v57, v31
	v_pack_b32_f16 v31, v32, v58
	v_pack_b32_f16 v32, v35, v59
	;; [unrolled: 1-line block ×3, first 2 shown]
	ds_write_b32 v39, v31 offset:1848
	ds_write_b32 v39, v32 offset:4004
	;; [unrolled: 1-line block ×3, first 2 shown]
.LBB0_13:
	s_or_b32 exec_lo, exec_lo, s2
	s_waitcnt lgkmcnt(0)
	s_barrier
	buffer_gl0_inv
	ds_read2_b32 v[35:36], v39 offset1:231
	ds_read2_b32 v[37:38], v29 offset0:11 offset1:242
	ds_read2_b32 v[33:34], v33 offset0:22 offset1:253
	s_and_saveexec_b32 s1, vcc_lo
	s_cbranch_execz .LBB0_15
; %bb.14:
	ds_read_b32 v68, v39 offset:1848
	ds_read_b32 v69, v39 offset:4004
	;; [unrolled: 1-line block ×3, first 2 shown]
	s_waitcnt lgkmcnt(2)
	v_lshrrev_b32_e32 v74, 16, v68
	s_waitcnt lgkmcnt(1)
	v_lshrrev_b32_e32 v73, 16, v69
	;; [unrolled: 2-line block ×3, first 2 shown]
.LBB0_15:
	s_or_b32 exec_lo, exec_lo, s1
	v_add_f16_e32 v29, v69, v70
	v_add_f16_e32 v32, v73, v71
	v_sub_f16_e32 v56, v73, v71
	s_waitcnt lgkmcnt(0)
	v_pk_add_f16 v59, v37, v33
	v_pk_add_f16 v57, v36, v38
	v_fma_f16 v29, -0.5, v29, v68
	v_fma_f16 v55, -0.5, v32, v74
	v_pk_add_f16 v60, v38, v34
	v_pk_add_f16 v38, v38, v34 neg_lo:[0,1] neg_hi:[0,1]
	v_pk_add_f16 v31, v35, v37
	v_fmamk_f16 v32, v56, 0xbaee, v29
	v_fmac_f16_e32 v29, 0x3aee, v56
	v_pk_add_f16 v56, v37, v33 neg_lo:[0,1] neg_hi:[0,1]
	v_sub_f16_e32 v58, v69, v70
	v_pk_fma_f16 v35, v59, 0.5, v35 op_sel_hi:[1,0,1] neg_lo:[1,0,0] neg_hi:[1,0,0]
	v_pk_fma_f16 v36, v60, 0.5, v36 op_sel_hi:[1,0,1] neg_lo:[1,0,0] neg_hi:[1,0,0]
	v_pk_mul_f16 v38, 0x3aee, v38 op_sel_hi:[0,1]
	v_pk_mul_f16 v56, 0x3aee, v56 op_sel_hi:[0,1]
	v_fmamk_f16 v37, v58, 0x3aee, v55
	v_fmac_f16_e32 v55, 0xbaee, v58
	v_pk_add_f16 v31, v31, v33
	v_pk_add_f16 v34, v57, v34
	v_pk_add_f16 v58, v35, v56 op_sel:[0,1] op_sel_hi:[1,0] neg_lo:[0,1] neg_hi:[0,1]
	v_pk_add_f16 v35, v35, v56 op_sel:[0,1] op_sel_hi:[1,0]
	v_pk_add_f16 v56, v36, v38 op_sel:[0,1] op_sel_hi:[1,0] neg_lo:[0,1] neg_hi:[0,1]
	v_pk_add_f16 v36, v36, v38 op_sel:[0,1] op_sel_hi:[1,0]
	s_barrier
	v_bfi_b32 v33, 0xffff, v58, v35
	v_bfi_b32 v35, 0xffff, v35, v58
	;; [unrolled: 1-line block ×4, first 2 shown]
	buffer_gl0_inv
	ds_write2_b32 v47, v31, v33 offset1:1
	ds_write_b32 v47, v35 offset:8
	ds_write2_b32 v49, v34, v38 offset1:1
	ds_write_b32 v49, v36 offset:8
	s_and_saveexec_b32 s1, vcc_lo
	s_cbranch_execz .LBB0_17
; %bb.16:
	v_add_f16_e32 v31, v74, v73
	v_add_f16_e32 v33, v68, v69
	v_lshlrev_b32_e32 v34, 2, v48
	v_perm_b32 v35, v37, v32, 0x5040100
	v_add_f16_e32 v31, v31, v71
	v_add_f16_e32 v33, v33, v70
	v_pack_b32_f16 v31, v33, v31
	v_perm_b32 v33, v55, v29, 0x5040100
	ds_write2_b32 v34, v31, v35 offset1:1
	ds_write_b32 v34, v33 offset:8
.LBB0_17:
	s_or_b32 exec_lo, exec_lo, s1
	s_waitcnt lgkmcnt(0)
	s_barrier
	buffer_gl0_inv
	ds_read2_b32 v[33:34], v39 offset1:231
	v_add_nc_u32_e32 v31, 0x700, v39
	v_add_nc_u32_e32 v38, 0xe40, v39
	ds_read_b32 v49, v39 offset:5544
	ds_read2_b32 v[35:36], v31 offset0:14 offset1:245
	ds_read2_b32 v[47:48], v38 offset0:12 offset1:243
	s_waitcnt lgkmcnt(0)
	s_barrier
	buffer_gl0_inv
	v_lshrrev_b32_e32 v56, 16, v34
	v_mul_f16_sdwa v58, v0, v34 dst_sel:DWORD dst_unused:UNUSED_PAD src0_sel:WORD_1 src1_sel:DWORD
	v_lshrrev_b32_e32 v57, 16, v49
	v_mul_f16_sdwa v59, v24, v49 dst_sel:DWORD dst_unused:UNUSED_PAD src0_sel:WORD_1 src1_sel:DWORD
	v_lshrrev_b32_e32 v60, 16, v35
	v_lshrrev_b32_e32 v61, 16, v36
	;; [unrolled: 1-line block ×3, first 2 shown]
	v_mul_f16_sdwa v64, v0, v56 dst_sel:DWORD dst_unused:UNUSED_PAD src0_sel:WORD_1 src1_sel:DWORD
	v_fma_f16 v56, v0, v56, -v58
	v_mul_f16_sdwa v58, v1, v35 dst_sel:DWORD dst_unused:UNUSED_PAD src0_sel:WORD_1 src1_sel:DWORD
	v_mul_f16_sdwa v65, v2, v36 dst_sel:DWORD dst_unused:UNUSED_PAD src0_sel:WORD_1 src1_sel:DWORD
	v_lshrrev_b32_e32 v62, 16, v47
	v_mul_f16_sdwa v67, v23, v48 dst_sel:DWORD dst_unused:UNUSED_PAD src0_sel:WORD_1 src1_sel:DWORD
	v_mul_f16_sdwa v68, v24, v57 dst_sel:DWORD dst_unused:UNUSED_PAD src0_sel:WORD_1 src1_sel:DWORD
	v_fma_f16 v57, v24, v57, -v59
	v_fmac_f16_e32 v64, v0, v34
	v_mul_f16_sdwa v0, v1, v60 dst_sel:DWORD dst_unused:UNUSED_PAD src0_sel:WORD_1 src1_sel:DWORD
	v_fma_f16 v34, v1, v60, -v58
	v_mul_f16_sdwa v58, v2, v61 dst_sel:DWORD dst_unused:UNUSED_PAD src0_sel:WORD_1 src1_sel:DWORD
	v_fma_f16 v59, v2, v61, -v65
	v_mul_f16_sdwa v61, v23, v63 dst_sel:DWORD dst_unused:UNUSED_PAD src0_sel:WORD_1 src1_sel:DWORD
	v_mul_f16_sdwa v66, v3, v47 dst_sel:DWORD dst_unused:UNUSED_PAD src0_sel:WORD_1 src1_sel:DWORD
	;; [unrolled: 1-line block ×3, first 2 shown]
	v_fmac_f16_e32 v68, v24, v49
	v_fmac_f16_e32 v0, v1, v35
	;; [unrolled: 1-line block ×4, first 2 shown]
	v_fma_f16 v2, v23, v63, -v67
	v_fmac_f16_e32 v60, v3, v47
	v_fma_f16 v1, v3, v62, -v66
	v_add_f16_e32 v3, v64, v68
	v_add_f16_e32 v23, v56, v57
	;; [unrolled: 1-line block ×4, first 2 shown]
	v_sub_f16_e32 v35, v56, v57
	v_sub_f16_e32 v0, v0, v61
	;; [unrolled: 1-line block ×3, first 2 shown]
	v_add_f16_e32 v34, v58, v60
	v_add_f16_e32 v48, v59, v1
	v_sub_f16_e32 v49, v60, v58
	v_sub_f16_e32 v1, v1, v59
	v_add_f16_e32 v56, v36, v3
	v_add_f16_e32 v57, v47, v23
	v_sub_f16_e32 v24, v64, v68
	v_sub_f16_e32 v58, v36, v3
	;; [unrolled: 1-line block ×7, first 2 shown]
	v_add_f16_e32 v60, v49, v0
	v_add_f16_e32 v61, v1, v2
	v_sub_f16_e32 v62, v49, v0
	v_sub_f16_e32 v63, v1, v2
	v_add_f16_e32 v34, v34, v56
	v_add_f16_e32 v48, v48, v57
	v_sub_f16_e32 v0, v0, v24
	v_sub_f16_e32 v2, v2, v35
	v_sub_f16_e32 v49, v24, v49
	v_sub_f16_e32 v1, v35, v1
	v_add_f16_e32 v24, v60, v24
	v_add_f16_e32 v35, v61, v35
	;; [unrolled: 1-line block ×3, first 2 shown]
	v_add_f16_sdwa v33, v33, v48 dst_sel:DWORD dst_unused:UNUSED_PAD src0_sel:WORD_1 src1_sel:DWORD
	v_mul_f16_e32 v3, 0x3a52, v3
	v_mul_f16_e32 v23, 0x3a52, v23
	;; [unrolled: 1-line block ×8, first 2 shown]
	v_fmamk_f16 v34, v34, 0xbcab, v56
	v_fmamk_f16 v48, v48, 0xbcab, v33
	;; [unrolled: 1-line block ×4, first 2 shown]
	v_fma_f16 v57, v58, 0x39e0, -v57
	v_fma_f16 v60, v59, 0x39e0, -v60
	;; [unrolled: 1-line block ×4, first 2 shown]
	v_fmamk_f16 v58, v49, 0xb574, v61
	v_fmamk_f16 v59, v1, 0xb574, v62
	v_fma_f16 v0, v0, 0xbb00, -v61
	v_fma_f16 v2, v2, 0xbb00, -v62
	;; [unrolled: 1-line block ×4, first 2 shown]
	v_add_f16_e32 v36, v36, v34
	v_add_f16_e32 v47, v47, v48
	v_fmac_f16_e32 v58, 0xb70e, v24
	v_fmac_f16_e32 v59, 0xb70e, v35
	v_add_f16_e32 v57, v57, v34
	v_add_f16_e32 v60, v60, v48
	;; [unrolled: 1-line block ×4, first 2 shown]
	v_fmac_f16_e32 v0, 0xb70e, v24
	v_fmac_f16_e32 v1, 0xb70e, v35
	;; [unrolled: 1-line block ×4, first 2 shown]
	v_add_f16_e32 v24, v59, v36
	v_sub_f16_e32 v34, v47, v58
	v_add_f16_e32 v35, v1, v3
	v_sub_f16_e32 v48, v23, v49
	v_sub_f16_e32 v61, v57, v2
	v_add_f16_e32 v62, v0, v60
	v_add_f16_e32 v2, v2, v57
	v_sub_f16_e32 v0, v60, v0
	v_sub_f16_e32 v1, v3, v1
	v_add_f16_e32 v3, v49, v23
	v_sub_f16_e32 v23, v36, v59
	v_add_f16_e32 v36, v58, v47
	v_pack_b32_f16 v33, v56, v33
	v_pack_b32_f16 v24, v24, v34
	;; [unrolled: 1-line block ×7, first 2 shown]
	ds_write2_b32 v50, v33, v24 offset1:3
	ds_write2_b32 v50, v34, v35 offset0:6 offset1:9
	ds_write2_b32 v50, v0, v1 offset0:12 offset1:15
	ds_write_b32 v50, v2 offset:72
	s_waitcnt lgkmcnt(0)
	s_barrier
	buffer_gl0_inv
	ds_read2_b32 v[1:2], v39 offset1:231
	ds_read2_b32 v[23:24], v31 offset0:14 offset1:245
	ds_read2_b32 v[33:34], v38 offset0:12 offset1:243
	ds_read_b32 v0, v39 offset:5544
	s_waitcnt lgkmcnt(0)
	s_barrier
	buffer_gl0_inv
	v_lshrrev_b32_e32 v3, 16, v2
	v_lshrrev_b32_e32 v31, 16, v23
	;; [unrolled: 1-line block ×3, first 2 shown]
	v_mul_f16_sdwa v38, v4, v2 dst_sel:DWORD dst_unused:UNUSED_PAD src0_sel:WORD_1 src1_sel:DWORD
	v_lshrrev_b32_e32 v47, 16, v33
	v_mul_f16_sdwa v36, v4, v3 dst_sel:DWORD dst_unused:UNUSED_PAD src0_sel:WORD_1 src1_sel:DWORD
	v_lshrrev_b32_e32 v48, 16, v34
	v_lshrrev_b32_e32 v49, 16, v0
	v_mul_f16_sdwa v50, v6, v24 dst_sel:DWORD dst_unused:UNUSED_PAD src0_sel:WORD_1 src1_sel:DWORD
	v_mul_f16_sdwa v56, v7, v47 dst_sel:DWORD dst_unused:UNUSED_PAD src0_sel:WORD_1 src1_sel:DWORD
	v_fmac_f16_e32 v36, v4, v2
	v_fma_f16 v2, v4, v3, -v38
	v_mul_f16_sdwa v3, v5, v31 dst_sel:DWORD dst_unused:UNUSED_PAD src0_sel:WORD_1 src1_sel:DWORD
	v_mul_f16_sdwa v4, v5, v23 dst_sel:DWORD dst_unused:UNUSED_PAD src0_sel:WORD_1 src1_sel:DWORD
	;; [unrolled: 1-line block ×3, first 2 shown]
	v_fmac_f16_e32 v56, v7, v33
	v_fmac_f16_e32 v3, v5, v23
	v_fma_f16 v4, v5, v31, -v4
	v_fmac_f16_e32 v38, v6, v24
	v_fma_f16 v5, v6, v35, -v50
	v_mul_f16_sdwa v6, v26, v49 dst_sel:DWORD dst_unused:UNUSED_PAD src0_sel:WORD_1 src1_sel:DWORD
	v_mul_f16_sdwa v23, v26, v0 dst_sel:DWORD dst_unused:UNUSED_PAD src0_sel:WORD_1 src1_sel:DWORD
	;; [unrolled: 1-line block ×5, first 2 shown]
	v_fmac_f16_e32 v6, v26, v0
	v_fma_f16 v0, v26, v49, -v23
	v_fma_f16 v7, v7, v47, -v24
	v_fmac_f16_e32 v31, v25, v34
	v_fma_f16 v23, v25, v48, -v33
	v_add_f16_e32 v24, v36, v6
	v_add_f16_e32 v25, v2, v0
	v_sub_f16_e32 v0, v2, v0
	v_add_f16_e32 v2, v3, v31
	v_add_f16_e32 v26, v4, v23
	v_sub_f16_e32 v3, v3, v31
	v_sub_f16_e32 v4, v4, v23
	v_add_f16_e32 v23, v38, v56
	v_add_f16_e32 v31, v5, v7
	v_sub_f16_e32 v33, v56, v38
	;; [unrolled: 4-line block ×3, first 2 shown]
	v_sub_f16_e32 v35, v2, v24
	v_sub_f16_e32 v36, v26, v25
	;; [unrolled: 1-line block ×6, first 2 shown]
	v_add_f16_e32 v38, v33, v3
	v_add_f16_e32 v47, v5, v4
	v_sub_f16_e32 v48, v33, v3
	v_sub_f16_e32 v49, v5, v4
	v_add_f16_e32 v7, v23, v7
	v_add_f16_e32 v23, v31, v34
	v_sub_f16_e32 v3, v3, v6
	v_sub_f16_e32 v4, v4, v0
	;; [unrolled: 1-line block ×4, first 2 shown]
	v_add_f16_e32 v31, v38, v6
	v_add_f16_e32 v34, v47, v0
	;; [unrolled: 1-line block ×3, first 2 shown]
	v_add_f16_sdwa v6, v1, v23 dst_sel:DWORD dst_unused:UNUSED_PAD src0_sel:WORD_1 src1_sel:DWORD
	v_mul_f16_e32 v1, 0x3a52, v24
	v_mul_f16_e32 v24, 0x3a52, v25
	;; [unrolled: 1-line block ×8, first 2 shown]
	v_fmamk_f16 v7, v7, 0xbcab, v0
	v_fmamk_f16 v23, v23, 0xbcab, v6
	;; [unrolled: 1-line block ×4, first 2 shown]
	v_fma_f16 v25, v35, 0x39e0, -v25
	v_fma_f16 v38, v36, 0x39e0, -v38
	;; [unrolled: 1-line block ×4, first 2 shown]
	v_fmamk_f16 v35, v33, 0xb574, v47
	v_fmamk_f16 v36, v5, 0xb574, v48
	v_fma_f16 v3, v3, 0xbb00, -v47
	v_fma_f16 v47, v4, 0xbb00, -v48
	;; [unrolled: 1-line block ×4, first 2 shown]
	v_add_f16_e32 v50, v2, v7
	v_add_f16_e32 v56, v26, v23
	v_fmac_f16_e32 v35, 0xb70e, v31
	v_fmac_f16_e32 v36, 0xb70e, v34
	v_add_f16_e32 v2, v25, v7
	v_add_f16_e32 v38, v38, v23
	;; [unrolled: 1-line block ×4, first 2 shown]
	v_fmac_f16_e32 v3, 0xb70e, v31
	v_fmac_f16_e32 v49, 0xb70e, v34
	;; [unrolled: 1-line block ×4, first 2 shown]
	v_add_f16_e32 v1, v36, v50
	v_sub_f16_e32 v33, v56, v35
	v_add_f16_e32 v4, v49, v7
	v_sub_f16_e32 v26, v23, v48
	v_sub_f16_e32 v5, v2, v47
	v_add_f16_e32 v25, v3, v38
	v_add_f16_e32 v2, v47, v2
	v_sub_f16_e32 v24, v38, v3
	v_sub_f16_e32 v3, v7, v49
	v_add_f16_e32 v7, v48, v23
	v_sub_f16_e32 v31, v50, v36
	v_add_f16_e32 v23, v35, v56
	v_pack_b32_f16 v34, v0, v6
	v_pack_b32_f16 v35, v1, v33
	;; [unrolled: 1-line block ×7, first 2 shown]
	ds_write2_b32 v51, v34, v35 offset1:21
	ds_write2_b32 v51, v36, v38 offset0:42 offset1:63
	ds_write2_b32 v51, v47, v48 offset0:84 offset1:105
	ds_write_b32 v51, v49 offset:504
	s_waitcnt lgkmcnt(0)
	s_barrier
	buffer_gl0_inv
	s_and_saveexec_b32 s1, s0
	s_cbranch_execz .LBB0_19
; %bb.18:
	v_add_nc_u32_e32 v2, 0x400, v39
	v_add_nc_u32_e32 v3, 0x800, v39
	;; [unrolled: 1-line block ×4, first 2 shown]
	ds_read2_b32 v[0:1], v39 offset1:147
	ds_read2_b32 v[4:5], v2 offset0:38 offset1:185
	ds_read2_b32 v[2:3], v3 offset0:76 offset1:223
	;; [unrolled: 1-line block ×4, first 2 shown]
	ds_read_b32 v52, v39 offset:5880
	s_waitcnt lgkmcnt(3)
	v_lshrrev_b32_e32 v24, 16, v2
	v_lshrrev_b32_e32 v6, 16, v0
	;; [unrolled: 1-line block ×6, first 2 shown]
	s_waitcnt lgkmcnt(2)
	v_lshrrev_b32_e32 v23, 16, v31
	v_lshrrev_b32_e32 v37, 16, v32
	s_waitcnt lgkmcnt(1)
	v_lshrrev_b32_e32 v55, 16, v29
	v_lshrrev_b32_e32 v53, 16, v30
	s_waitcnt lgkmcnt(0)
	v_lshrrev_b32_e32 v54, 16, v52
.LBB0_19:
	s_or_b32 exec_lo, exec_lo, s1
	s_and_saveexec_b32 s1, s0
	s_cbranch_execz .LBB0_21
; %bb.20:
	v_mul_f16_sdwa v34, v28, v52 dst_sel:DWORD dst_unused:UNUSED_PAD src0_sel:WORD_1 src1_sel:DWORD
	v_mul_f16_sdwa v35, v12, v1 dst_sel:DWORD dst_unused:UNUSED_PAD src0_sel:WORD_1 src1_sel:DWORD
	;; [unrolled: 1-line block ×5, first 2 shown]
	v_fma_f16 v34, v28, v54, -v34
	v_fma_f16 v35, v12, v33, -v35
	v_mul_f16_sdwa v33, v12, v33 dst_sel:DWORD dst_unused:UNUSED_PAD src0_sel:WORD_1 src1_sel:DWORD
	v_fma_f16 v36, v27, v53, -v36
	v_fma_f16 v38, v13, v26, -v38
	v_mul_f16_sdwa v26, v13, v26 dst_sel:DWORD dst_unused:UNUSED_PAD src0_sel:WORD_1 src1_sel:DWORD
	v_add_f16_e32 v48, v34, v35
	v_mul_f16_sdwa v49, v27, v53 dst_sel:DWORD dst_unused:UNUSED_PAD src0_sel:WORD_1 src1_sel:DWORD
	v_fmac_f16_e32 v33, v12, v1
	v_fmac_f16_e32 v47, v28, v52
	v_add_f16_e32 v12, v36, v38
	v_fmac_f16_e32 v26, v13, v4
	v_fmac_f16_e32 v49, v27, v30
	v_mul_f16_e32 v4, 0xbbad, v48
	v_sub_f16_e32 v13, v33, v47
	v_mul_f16_e32 v27, 0x3abb, v12
	v_mul_f16_sdwa v51, v14, v5 dst_sel:DWORD dst_unused:UNUSED_PAD src0_sel:WORD_1 src1_sel:DWORD
	v_sub_f16_e32 v1, v26, v49
	v_mul_f16_sdwa v52, v14, v25 dst_sel:DWORD dst_unused:UNUSED_PAD src0_sel:WORD_1 src1_sel:DWORD
	v_fmamk_f16 v28, v13, 0x3482, v4
	v_mul_f16_sdwa v50, v11, v29 dst_sel:DWORD dst_unused:UNUSED_PAD src0_sel:WORD_1 src1_sel:DWORD
	v_fma_f16 v25, v14, v25, -v51
	v_fmamk_f16 v30, v1, 0xb853, v27
	v_mul_f16_sdwa v53, v15, v2 dst_sel:DWORD dst_unused:UNUSED_PAD src0_sel:WORD_1 src1_sel:DWORD
	v_add_f16_e32 v28, v6, v28
	v_fmac_f16_e32 v52, v14, v5
	v_mul_f16_sdwa v14, v15, v24 dst_sel:DWORD dst_unused:UNUSED_PAD src0_sel:WORD_1 src1_sel:DWORD
	v_fma_f16 v50, v11, v55, -v50
	v_mul_f16_sdwa v51, v10, v32 dst_sel:DWORD dst_unused:UNUSED_PAD src0_sel:WORD_1 src1_sel:DWORD
	v_add_f16_e32 v28, v30, v28
	v_mul_f16_sdwa v30, v11, v55 dst_sel:DWORD dst_unused:UNUSED_PAD src0_sel:WORD_1 src1_sel:DWORD
	v_fmac_f16_e32 v14, v15, v2
	v_sub_f16_e32 v55, v35, v34
	v_mul_f16_sdwa v2, v9, v31 dst_sel:DWORD dst_unused:UNUSED_PAD src0_sel:WORD_1 src1_sel:DWORD
	v_add_f16_e32 v56, v47, v33
	v_fmac_f16_e32 v30, v11, v29
	v_fma_f16 v11, v15, v24, -v53
	v_mul_f16_sdwa v15, v8, v3 dst_sel:DWORD dst_unused:UNUSED_PAD src0_sel:WORD_1 src1_sel:DWORD
	v_sub_f16_e32 v59, v38, v36
	v_mul_f16_e32 v84, 0xbbeb, v55
	v_fma_f16 v5, v10, v37, -v51
	v_mul_f16_sdwa v24, v10, v37 dst_sel:DWORD dst_unused:UNUSED_PAD src0_sel:WORD_1 src1_sel:DWORD
	v_fma_f16 v15, v8, v7, -v15
	v_mul_f16_sdwa v7, v8, v7 dst_sel:DWORD dst_unused:UNUSED_PAD src0_sel:WORD_1 src1_sel:DWORD
	;; [unrolled: 2-line block ×3, first 2 shown]
	v_add_f16_e32 v61, v49, v26
	v_fmamk_f16 v88, v56, 0xb08e, v84
	v_fmac_f16_e32 v7, v8, v3
	v_sub_f16_e32 v3, v25, v50
	v_mul_f16_e32 v89, 0x3482, v59
	v_fmac_f16_e32 v24, v10, v32
	v_fmac_f16_e32 v23, v9, v31
	v_add_f16_e32 v31, v30, v52
	v_sub_f16_e32 v64, v11, v5
	v_add_f16_e32 v88, v0, v88
	v_fmamk_f16 v91, v61, 0xbbad, v89
	v_mul_f16_e32 v92, 0x3b47, v3
	v_add_f16_e32 v54, v50, v25
	v_mul_f16_e32 v57, 0xb482, v55
	v_add_f16_e32 v66, v24, v14
	v_add_f16_e32 v88, v91, v88
	v_fmamk_f16 v91, v31, 0x36a6, v92
	v_mul_f16_e32 v94, 0xb853, v64
	v_mul_f16_e32 v29, 0xb93d, v54
	v_sub_f16_e32 v37, v52, v30
	v_add_f16_e32 v51, v5, v11
	v_fmamk_f16 v60, v56, 0xbbad, v57
	v_mul_f16_e32 v62, 0x3853, v59
	v_add_f16_e32 v88, v91, v88
	v_fmamk_f16 v91, v66, 0x3abb, v94
	v_add_f16_e32 v33, v0, v33
	v_add_f16_e32 v35, v35, v6
	v_fmamk_f16 v10, v37, 0x3a0c, v29
	v_mul_f16_e32 v32, 0x36a6, v51
	v_sub_f16_e32 v53, v14, v24
	v_add_f16_e32 v58, v2, v15
	v_add_f16_e32 v8, v0, v60
	v_fmamk_f16 v9, v61, 0x3abb, v62
	v_mul_f16_e32 v60, 0xba0c, v3
	v_mul_f16_e32 v72, 0xba0c, v55
	v_add_f16_e32 v88, v91, v88
	v_mul_f16_e32 v91, 0xbb47, v55
	v_mul_f16_e32 v55, 0xb853, v55
	v_add_f16_e32 v26, v26, v33
	v_add_f16_e32 v33, v38, v35
	;; [unrolled: 1-line block ×3, first 2 shown]
	v_fmamk_f16 v28, v53, 0xbb47, v32
	v_mul_f16_e32 v63, 0xb08e, v58
	v_sub_f16_e32 v65, v7, v23
	v_add_f16_e32 v8, v9, v8
	v_fmamk_f16 v9, v31, 0xb93d, v60
	v_mul_f16_e32 v67, 0x3b47, v64
	v_fmamk_f16 v35, v56, 0x3abb, v55
	v_mul_f16_e32 v38, 0xbb47, v59
	v_add_f16_e32 v26, v52, v26
	v_add_f16_e32 v25, v25, v33
	;; [unrolled: 1-line block ×3, first 2 shown]
	v_fmamk_f16 v28, v65, 0x3beb, v63
	v_add_f16_e32 v8, v9, v8
	v_fmamk_f16 v9, v66, 0x36a6, v67
	v_mul_f16_e32 v68, 0xb93d, v48
	v_mul_f16_e32 v80, 0xb853, v3
	;; [unrolled: 1-line block ×3, first 2 shown]
	v_add_f16_e32 v33, v0, v35
	v_fmamk_f16 v35, v61, 0x36a6, v38
	v_mul_f16_e32 v3, 0xbbeb, v3
	v_add_f16_e32 v14, v14, v26
	v_add_f16_e32 v11, v11, v25
	;; [unrolled: 1-line block ×3, first 2 shown]
	v_sub_f16_e32 v28, v15, v2
	v_add_f16_e32 v8, v9, v8
	v_fmamk_f16 v9, v13, 0x3a0c, v68
	v_mul_f16_e32 v69, 0xb08e, v12
	v_add_f16_e32 v70, v23, v7
	v_add_f16_e32 v26, v35, v33
	v_fmamk_f16 v33, v31, 0xb08e, v3
	v_add_f16_e32 v7, v7, v14
	v_add_f16_e32 v11, v15, v11
	v_mul_f16_e32 v15, 0xba0c, v64
	v_add_f16_e32 v9, v6, v9
	v_fmamk_f16 v73, v1, 0xbbeb, v69
	v_mul_f16_e32 v74, 0x3abb, v54
	v_add_f16_e32 v26, v33, v26
	v_add_f16_e32 v7, v23, v7
	;; [unrolled: 1-line block ×3, first 2 shown]
	v_fmamk_f16 v11, v66, 0xb93d, v15
	v_mul_f16_e32 v23, 0xb482, v28
	v_add_f16_e32 v9, v73, v9
	v_fmamk_f16 v73, v37, 0x3853, v74
	v_mul_f16_e32 v78, 0xbbad, v51
	v_add_f16_e32 v2, v5, v2
	v_add_f16_e32 v5, v11, v26
	v_fmamk_f16 v11, v70, 0xbbad, v23
	v_mul_f16_e32 v71, 0xbbeb, v28
	v_add_f16_e32 v9, v73, v9
	v_fmamk_f16 v73, v53, 0x3482, v78
	v_mul_f16_e32 v81, 0x36a6, v58
	v_add_f16_e32 v5, v11, v5
	v_fma_f16 v11, v56, 0xbbad, -v57
	v_fmamk_f16 v75, v70, 0xb08e, v71
	v_fmamk_f16 v76, v56, 0xb93d, v72
	v_mul_f16_e32 v77, 0x3beb, v59
	v_add_f16_e32 v9, v73, v9
	v_fmamk_f16 v73, v65, 0xbb47, v81
	v_mul_f16_e32 v83, 0xb08e, v48
	v_add_f16_e32 v7, v24, v7
	v_add_f16_e32 v11, v0, v11
	v_fma_f16 v24, v61, 0x3abb, -v62
	v_add_f16_e32 v76, v0, v76
	v_fmamk_f16 v79, v61, 0xb08e, v77
	v_add_f16_e32 v8, v75, v8
	v_add_f16_e32 v9, v73, v9
	v_fmamk_f16 v73, v13, 0x3beb, v83
	v_mul_f16_e32 v75, 0xbbad, v12
	v_add_f16_e32 v11, v24, v11
	v_fma_f16 v24, v31, 0xb93d, -v60
	v_add_f16_e32 v76, v79, v76
	v_fmamk_f16 v79, v31, 0x3abb, v80
	v_mul_f16_e32 v82, 0xb482, v64
	v_add_f16_e32 v73, v6, v73
	v_fmamk_f16 v85, v1, 0xb482, v75
	v_mul_f16_e32 v86, 0x36a6, v54
	v_fmac_f16_e32 v4, 0xb482, v13
	v_add_f16_e32 v11, v24, v11
	v_fma_f16 v24, v66, 0x36a6, -v67
	v_add_f16_e32 v76, v79, v76
	v_fmamk_f16 v79, v66, 0xbbad, v82
	v_add_f16_e32 v73, v85, v73
	v_fmamk_f16 v85, v37, 0xbb47, v86
	v_mul_f16_e32 v90, 0x3abb, v51
	v_add_f16_e32 v4, v6, v4
	v_fmac_f16_e32 v27, 0x3853, v1
	v_add_f16_e32 v11, v24, v11
	v_fma_f16 v24, v70, 0xb08e, -v71
	v_add_f16_e32 v76, v79, v76
	v_mul_f16_e32 v79, 0x3b47, v28
	v_add_f16_e32 v73, v85, v73
	v_fmamk_f16 v85, v53, 0x3853, v90
	v_add_f16_e32 v4, v27, v4
	v_fmac_f16_e32 v29, 0xba0c, v37
	v_add_f16_e32 v11, v24, v11
	v_fma_f16 v24, v56, 0xb08e, -v84
	v_fmamk_f16 v99, v56, 0x36a6, v91
	v_mul_f16_e32 v100, 0xba0c, v59
	v_fmamk_f16 v87, v70, 0x36a6, v79
	v_mul_f16_e32 v93, 0xb93d, v58
	v_add_f16_e32 v73, v85, v73
	v_mul_f16_e32 v85, 0x36a6, v48
	v_add_f16_e32 v4, v29, v4
	v_fma_f16 v27, v56, 0xb93d, -v72
	v_add_f16_e32 v24, v0, v24
	v_fma_f16 v29, v61, 0xbbad, -v89
	v_add_f16_e32 v99, v0, v99
	v_fmamk_f16 v102, v61, 0xb93d, v100
	v_fmamk_f16 v95, v65, 0x3a0c, v93
	v_add_f16_e32 v76, v87, v76
	v_fmamk_f16 v87, v13, 0x3b47, v85
	v_mul_f16_e32 v96, 0xb93d, v12
	v_mul_f16_e32 v98, 0xba0c, v28
	;; [unrolled: 1-line block ×3, first 2 shown]
	v_fmac_f16_e32 v32, 0x3b47, v53
	v_add_f16_e32 v27, v0, v27
	v_fma_f16 v28, v61, 0xb08e, -v77
	v_fmac_f16_e32 v85, 0xbb47, v13
	v_add_f16_e32 v24, v29, v24
	v_fma_f16 v29, v31, 0x36a6, -v92
	v_add_f16_e32 v99, v102, v99
	v_fmamk_f16 v102, v31, 0xbbad, v103
	v_mul_f16_e32 v105, 0x3beb, v64
	v_mul_f16_e32 v48, 0x3abb, v48
	v_add_f16_e32 v73, v95, v73
	v_add_f16_e32 v87, v6, v87
	v_fmamk_f16 v95, v1, 0x3a0c, v96
	v_mul_f16_e32 v97, 0xbbad, v54
	v_add_f16_e32 v4, v32, v4
	v_add_f16_e32 v27, v28, v27
	v_fma_f16 v28, v31, 0x3abb, -v80
	v_add_f16_e32 v32, v6, v85
	v_fmac_f16_e32 v96, 0xba0c, v1
	v_add_f16_e32 v24, v29, v24
	v_fma_f16 v29, v66, 0x3abb, -v94
	v_add_f16_e32 v99, v102, v99
	v_fmamk_f16 v102, v66, 0xb08e, v105
	v_fmamk_f16 v107, v13, 0x3853, v48
	v_mul_f16_e32 v12, 0x36a6, v12
	v_add_f16_e32 v87, v95, v87
	v_fmamk_f16 v95, v37, 0xb482, v97
	v_mul_f16_e32 v101, 0xb08e, v51
	v_add_f16_e32 v27, v28, v27
	v_fma_f16 v28, v66, 0xbbad, -v82
	v_add_f16_e32 v32, v96, v32
	v_fmac_f16_e32 v97, 0x3482, v37
	v_add_f16_e32 v24, v29, v24
	v_fma_f16 v29, v70, 0xb93d, -v98
	v_fmamk_f16 v104, v70, 0xb93d, v98
	v_add_f16_e32 v99, v102, v99
	v_fmamk_f16 v102, v70, 0x3abb, v106
	v_add_f16_e32 v107, v6, v107
	v_fmamk_f16 v109, v1, 0x3b47, v12
	v_mul_f16_e32 v54, 0xb08e, v54
	v_fmac_f16_e32 v68, 0xba0c, v13
	v_add_f16_e32 v87, v95, v87
	v_fmamk_f16 v95, v53, 0xbbeb, v101
	v_add_f16_e32 v7, v30, v7
	v_fmac_f16_e32 v83, 0xbbeb, v13
	v_add_f16_e32 v27, v28, v27
	v_fma_f16 v30, v70, 0x36a6, -v79
	v_add_f16_e32 v32, v97, v32
	v_fmac_f16_e32 v101, 0x3beb, v53
	v_add_f16_e32 v24, v29, v24
	v_fma_f16 v29, v56, 0x36a6, -v91
	v_fmac_f16_e32 v48, 0xb853, v13
	v_fma_f16 v13, v56, 0x3abb, -v55
	v_add_f16_e32 v88, v104, v88
	v_add_f16_e32 v99, v102, v99
	;; [unrolled: 1-line block ×3, first 2 shown]
	v_fmamk_f16 v104, v37, 0x3beb, v54
	v_mul_f16_e32 v51, 0xb93d, v51
	v_add_f16_e32 v26, v6, v68
	v_fmac_f16_e32 v69, 0x3beb, v1
	v_add_f16_e32 v28, v6, v83
	v_fmac_f16_e32 v75, 0x3482, v1
	v_add_f16_e32 v27, v30, v27
	v_add_f16_e32 v30, v101, v32
	;; [unrolled: 1-line block ×3, first 2 shown]
	v_fma_f16 v32, v61, 0xb93d, -v100
	v_add_f16_e32 v6, v6, v48
	v_fmac_f16_e32 v12, 0xbb47, v1
	v_add_f16_e32 v0, v0, v13
	v_fma_f16 v1, v61, 0x36a6, -v38
	v_add_f16_e32 v102, v104, v102
	v_fmamk_f16 v104, v53, 0x3a0c, v51
	v_mul_f16_e32 v25, 0xbbad, v58
	v_add_f16_e32 v2, v50, v2
	v_add_f16_e32 v26, v69, v26
	v_fmac_f16_e32 v74, 0xb853, v37
	v_add_f16_e32 v28, v75, v28
	v_fmac_f16_e32 v86, 0x3b47, v37
	v_add_f16_e32 v13, v32, v29
	v_fma_f16 v29, v31, 0xbbad, -v103
	v_add_f16_e32 v6, v12, v6
	v_fmac_f16_e32 v54, 0xbbeb, v37
	v_add_f16_e32 v0, v1, v0
	v_fma_f16 v1, v31, 0xb08e, -v3
	v_add_f16_e32 v87, v95, v87
	v_mul_f16_e32 v95, 0x3abb, v58
	v_add_f16_e32 v59, v104, v102
	v_fmamk_f16 v14, v65, 0x3482, v25
	v_add_f16_e32 v7, v49, v7
	v_add_f16_e32 v2, v36, v2
	;; [unrolled: 1-line block ×3, first 2 shown]
	v_fmac_f16_e32 v78, 0xb482, v53
	v_add_f16_e32 v28, v86, v28
	v_fmac_f16_e32 v90, 0xb853, v53
	v_add_f16_e32 v3, v29, v13
	v_fma_f16 v12, v66, 0xb08e, -v105
	v_add_f16_e32 v6, v54, v6
	v_fmac_f16_e32 v51, 0xba0c, v53
	v_add_f16_e32 v0, v1, v0
	v_fma_f16 v1, v66, 0xb93d, -v15
	v_fmamk_f16 v108, v65, 0xb853, v95
	v_add_f16_e32 v14, v14, v59
	v_add_f16_e32 v7, v47, v7
	;; [unrolled: 1-line block ×3, first 2 shown]
	v_fmac_f16_e32 v63, 0xbbeb, v65
	v_add_f16_e32 v26, v78, v26
	v_fmac_f16_e32 v81, 0x3b47, v65
	v_add_f16_e32 v28, v90, v28
	v_fmac_f16_e32 v93, 0xba0c, v65
	v_fmac_f16_e32 v95, 0x3853, v65
	v_add_f16_e32 v3, v12, v3
	v_fma_f16 v12, v70, 0x3abb, -v106
	v_add_f16_e32 v6, v51, v6
	v_fmac_f16_e32 v25, 0xb482, v65
	v_add_f16_e32 v0, v1, v0
	v_fma_f16 v1, v70, 0xbbad, -v23
	v_add_f16_e32 v87, v108, v87
	v_pack_b32_f16 v2, v7, v2
	v_pack_b32_f16 v5, v5, v14
	v_add_f16_e32 v4, v63, v4
	v_add_f16_e32 v26, v81, v26
	;; [unrolled: 1-line block ×7, first 2 shown]
	ds_write2_b32 v39, v2, v5 offset1:147
	v_pack_b32_f16 v1, v99, v87
	v_pack_b32_f16 v2, v88, v73
	v_add_nc_u32_e32 v5, 0x400, v39
	v_pack_b32_f16 v9, v76, v9
	v_pack_b32_f16 v8, v8, v10
	v_add_nc_u32_e32 v10, 0x800, v39
	;; [unrolled: 3-line block ×4, first 2 shown]
	v_pack_b32_f16 v0, v0, v6
	ds_write2_b32 v5, v1, v2 offset0:38 offset1:185
	ds_write2_b32 v10, v9, v8 offset0:76 offset1:223
	;; [unrolled: 1-line block ×4, first 2 shown]
	ds_write_b32 v39, v0 offset:5880
.LBB0_21:
	s_or_b32 exec_lo, exec_lo, s1
	s_waitcnt lgkmcnt(0)
	s_barrier
	buffer_gl0_inv
	ds_read2_b32 v[4:5], v39 offset1:231
	v_add_nc_u32_e32 v0, 0x840, v39
	v_mad_u64_u32 v[6:7], null, s10, v20, 0
	s_mov_b32 s4, 0x929a339d
	s_mov_b32 s5, 0x3f4443c2
	ds_read2_b32 v[2:3], v0 offset0:11 offset1:242
	s_waitcnt lgkmcnt(1)
	v_lshrrev_b32_e32 v0, 16, v4
	v_mul_f16_sdwa v1, v45, v4 dst_sel:DWORD dst_unused:UNUSED_PAD src0_sel:WORD_1 src1_sel:DWORD
	v_mul_f16_sdwa v8, v45, v0 dst_sel:DWORD dst_unused:UNUSED_PAD src0_sel:WORD_1 src1_sel:DWORD
	v_fma_f16 v0, v45, v0, -v1
	v_add_nc_u32_e32 v1, 0x1080, v39
	s_waitcnt lgkmcnt(0)
	v_lshrrev_b32_e32 v14, 16, v2
	v_mul_f16_sdwa v10, v46, v2 dst_sel:DWORD dst_unused:UNUSED_PAD src0_sel:WORD_1 src1_sel:DWORD
	v_fmac_f16_e32 v8, v45, v4
	v_cvt_f32_f16_e32 v4, v0
	ds_read2_b32 v[0:1], v1 offset0:22 offset1:253
	v_mul_f16_sdwa v23, v46, v14 dst_sel:DWORD dst_unused:UNUSED_PAD src0_sel:WORD_1 src1_sel:DWORD
	v_cvt_f32_f16_e32 v12, v8
	v_cvt_f64_f32_e32 v[8:9], v4
	v_fma_f16 v4, v46, v14, -v10
	v_mad_u64_u32 v[10:11], null, s8, v43, 0
	v_cvt_f64_f32_e32 v[12:13], v12
	v_fmac_f16_e32 v23, v46, v2
	v_cvt_f32_f16_e32 v14, v4
	v_mov_b32_e32 v4, v7
	v_mov_b32_e32 v2, v11
	v_cvt_f64_f32_e32 v[14:15], v14
	v_cvt_f32_f16_e32 v7, v23
	v_mad_u64_u32 v[23:24], null, s11, v20, v[4:5]
	v_mad_u64_u32 v[24:25], null, s9, v43, v[2:3]
	s_waitcnt lgkmcnt(0)
	v_lshrrev_b32_e32 v2, 16, v0
	v_cvt_f64_f32_e32 v[25:26], v7
	v_mul_f16_sdwa v20, v44, v0 dst_sel:DWORD dst_unused:UNUSED_PAD src0_sel:WORD_1 src1_sel:DWORD
	v_mov_b32_e32 v7, v23
	v_mul_f64 v[8:9], v[8:9], s[4:5]
	v_mul_f16_sdwa v4, v44, v2 dst_sel:DWORD dst_unused:UNUSED_PAD src0_sel:WORD_1 src1_sel:DWORD
	v_mov_b32_e32 v11, v24
	v_mul_f64 v[12:13], v[12:13], s[4:5]
	v_lshlrev_b64 v[6:7], 2, v[6:7]
	v_fmac_f16_e32 v4, v44, v0
	v_fma_f16 v0, v44, v2, -v20
	v_lshlrev_b64 v[10:11], 2, v[10:11]
	v_mul_f64 v[14:15], v[14:15], s[4:5]
	v_cvt_f32_f16_e32 v2, v4
	v_add_co_u32 v4, s0, s6, v6
	v_add_co_ci_u32_e64 v20, s0, s7, v7, s0
	v_cvt_f64_f32_e32 v[6:7], v2
	v_mul_f64 v[23:24], v[25:26], s[4:5]
	v_cvt_f32_f16_e32 v0, v0
	v_and_or_b32 v2, 0x1ff, v9, v8
	v_lshrrev_b32_e32 v8, 8, v9
	v_bfe_u32 v25, v9, 20, 11
	v_lshrrev_b32_e32 v9, 16, v9
	v_and_or_b32 v12, 0x1ff, v13, v12
	v_cmp_ne_u32_e64 s0, 0, v2
	v_lshrrev_b32_e32 v26, 8, v13
	v_bfe_u32 v27, v13, 20, 11
	v_sub_nc_u32_e32 v28, 0x3f1, v25
	v_add_nc_u32_e32 v25, 0xfffffc10, v25
	v_cndmask_b32_e64 v2, 0, 1, s0
	v_cmp_ne_u32_e64 s0, 0, v12
	v_and_or_b32 v14, 0x1ff, v15, v14
	v_sub_nc_u32_e32 v31, 0x3f1, v27
	v_bfe_u32 v30, v15, 20, 11
	v_and_or_b32 v2, 0xffe, v8, v2
	v_cndmask_b32_e64 v12, 0, 1, s0
	v_cmp_ne_u32_e64 s0, 0, v14
	v_and_or_b32 v23, 0x1ff, v24, v23
	v_lshrrev_b32_e32 v29, 8, v15
	v_med3_i32 v8, v28, 0, 13
	v_and_or_b32 v12, 0xffe, v26, v12
	v_cndmask_b32_e64 v14, 0, 1, s0
	v_med3_i32 v26, v31, 0, 13
	v_cmp_ne_u32_e64 s0, 0, v2
	v_sub_nc_u32_e32 v33, 0x3f1, v30
	v_or_b32_e32 v35, 0x1000, v12
	v_or_b32_e32 v31, 0x1000, v2
	v_lshl_or_b32 v34, v25, 12, v2
	v_cndmask_b32_e64 v2, 0, 1, s0
	v_cmp_ne_u32_e64 s0, 0, v23
	v_lshrrev_b32_e32 v37, v26, v35
	v_add_nc_u32_e32 v27, 0xfffffc10, v27
	v_and_or_b32 v14, 0xffe, v29, v14
	v_med3_i32 v29, v33, 0, 13
	v_cndmask_b32_e64 v23, 0, 1, s0
	v_lshrrev_b32_e32 v33, v8, v31
	v_lshlrev_b32_e32 v26, v26, v37
	v_cmp_ne_u32_e64 s0, 0, v12
	v_lshrrev_b32_e32 v28, 8, v24
	v_bfe_u32 v32, v24, 20, 11
	v_lshl_or_b32 v38, v27, 12, v12
	v_lshlrev_b32_e32 v8, v8, v33
	v_cndmask_b32_e64 v12, 0, 1, s0
	v_cmp_ne_u32_e64 s0, v26, v35
	v_sub_nc_u32_e32 v36, 0x3f1, v32
	v_and_or_b32 v23, 0xffe, v28, v23
	v_add_nc_u32_e32 v32, 0xfffffc10, v32
	v_lshl_or_b32 v12, v12, 9, 0x7c00
	v_cndmask_b32_e64 v26, 0, 1, s0
	v_cmp_ne_u32_e64 s0, v8, v31
	v_med3_i32 v28, v36, 0, 13
	v_or_b32_e32 v31, 0x1000, v23
	v_lshl_or_b32 v36, v32, 12, v23
	v_or_b32_e32 v26, v37, v26
	v_cndmask_b32_e64 v8, 0, 1, s0
	v_cmp_gt_i32_e64 s0, 1, v27
	v_lshrrev_b32_e32 v13, 16, v13
	v_lshl_or_b32 v2, v2, 9, 0x7c00
	v_or_b32_e32 v35, 0x1000, v14
	v_or_b32_e32 v8, v33, v8
	v_lshrrev_b32_e32 v33, v28, v31
	v_cndmask_b32_e64 v26, v38, v26, s0
	v_cmp_gt_i32_e64 s0, 1, v25
	v_mul_f64 v[6:7], v[6:7], s[4:5]
	v_lshlrev_b32_e32 v28, v28, v33
	v_cndmask_b32_e64 v8, v34, v8, s0
	v_and_b32_e32 v34, 7, v26
	v_lshrrev_b32_e32 v26, 2, v26
	v_cmp_ne_u32_e64 s0, v28, v31
	v_and_b32_e32 v37, 7, v8
	v_cmp_eq_u32_e64 s1, 3, v34
	v_lshrrev_b32_e32 v8, 2, v8
	v_cndmask_b32_e64 v28, 0, 1, s0
	v_cmp_lt_i32_e64 s0, 5, v34
	v_cmp_lt_i32_e64 s2, 5, v37
	v_cmp_eq_u32_e64 s3, 3, v37
	v_or_b32_e32 v28, v33, v28
	s_or_b32 s0, s1, s0
	v_add_co_ci_u32_e64 v26, s0, 0, v26, s0
	s_or_b32 s0, s3, s2
	v_and_or_b32 v6, 0x1ff, v7, v6
	v_add_co_ci_u32_e64 v8, s0, 0, v8, s0
	v_cmp_gt_i32_e64 s0, 31, v27
	v_cndmask_b32_e64 v26, 0x7c00, v26, s0
	v_cmp_gt_i32_e64 s0, 31, v25
	v_cndmask_b32_e64 v8, 0x7c00, v8, s0
	v_cmp_eq_u32_e64 s0, 0x40f, v27
	v_cndmask_b32_e64 v12, v26, v12, s0
	v_cmp_gt_i32_e64 s0, 1, v32
	v_cndmask_b32_e64 v26, v36, v28, s0
	v_cmp_eq_u32_e64 s0, 0x40f, v25
	v_cndmask_b32_e64 v2, v8, v2, s0
	v_and_or_b32 v8, 0x8000, v13, v12
	v_lshrrev_b32_e32 v12, v29, v35
	v_and_b32_e32 v13, 7, v26
	v_and_or_b32 v2, 0x8000, v9, v2
	v_and_b32_e32 v25, 0xffff, v8
	v_add_co_u32 v8, s0, v4, v10
	v_lshlrev_b32_e32 v10, v29, v12
	v_add_co_ci_u32_e64 v9, s0, v20, v11, s0
	v_cmp_lt_i32_e64 s0, 5, v13
	v_cmp_eq_u32_e64 s1, 3, v13
	v_lshl_or_b32 v2, v2, 16, v25
	v_lshrrev_b32_e32 v11, 2, v26
	v_cmp_ne_u32_e64 s2, v10, v35
	v_add_nc_u32_e32 v4, 0xfffffc10, v30
	s_or_b32 s0, s1, s0
	global_store_dword v[8:9], v2, off
	v_add_co_ci_u32_e64 v2, s0, 0, v11, s0
	v_cndmask_b32_e64 v10, 0, 1, s2
	v_cmp_ne_u32_e64 s0, 0, v23
	v_lshl_or_b32 v13, v4, 12, v14
	v_bfe_u32 v23, v7, 20, 11
	s_mul_i32 s2, s8, 0x21b
	v_or_b32_e32 v12, v12, v10
	v_cvt_f64_f32_e32 v[10:11], v0
	v_cndmask_b32_e64 v20, 0, 1, s0
	v_cmp_gt_i32_e64 s0, 1, v4
	v_cndmask_b32_e64 v0, v13, v12, s0
	v_cmp_gt_i32_e64 s0, 31, v32
	v_lshl_or_b32 v12, v20, 9, 0x7c00
	v_lshrrev_b32_e32 v20, 8, v7
	v_lshrrev_b32_e32 v7, 16, v7
	v_and_b32_e32 v13, 7, v0
	v_cndmask_b32_e64 v2, 0x7c00, v2, s0
	v_cmp_ne_u32_e64 s0, 0, v6
	v_lshrrev_b32_e32 v0, 2, v0
	v_cmp_eq_u32_e64 s1, 3, v13
	v_cndmask_b32_e64 v6, 0, 1, s0
	v_cmp_eq_u32_e64 s0, 0x40f, v32
	v_mul_f64 v[10:11], v[10:11], s[4:5]
	v_and_or_b32 v6, 0xffe, v20, v6
	v_cndmask_b32_e64 v2, v2, v12, s0
	v_cmp_lt_i32_e64 s0, 5, v13
	v_sub_nc_u32_e32 v20, 0x3f1, v23
	v_lshrrev_b32_e32 v12, 16, v24
	v_or_b32_e32 v13, 0x1000, v6
	v_lshrrev_b32_e32 v24, 16, v5
	s_or_b32 s0, s1, s0
	v_med3_i32 v20, v20, 0, 13
	v_add_co_ci_u32_e64 v0, s0, 0, v0, s0
	v_cmp_ne_u32_e64 s0, 0, v14
	v_mul_f16_sdwa v26, v42, v24 dst_sel:DWORD dst_unused:UNUSED_PAD src0_sel:WORD_1 src1_sel:DWORD
	v_lshrrev_b32_e32 v25, v20, v13
	v_and_or_b32 v2, 0x8000, v12, v2
	s_mul_hi_u32 s1, s8, 0x21b
	v_cndmask_b32_e64 v14, 0, 1, s0
	v_cmp_gt_i32_e64 s0, 31, v4
	v_lshlrev_b32_e32 v12, v20, v25
	v_fmac_f16_e32 v26, v42, v5
	v_and_or_b32 v10, 0x1ff, v11, v10
	v_lshl_or_b32 v14, v14, 9, 0x7c00
	v_cndmask_b32_e64 v0, 0x7c00, v0, s0
	v_cmp_eq_u32_e64 s0, 0x40f, v4
	v_lshrrev_b32_e32 v4, 16, v15
	v_add_nc_u32_e32 v20, 0xfffffc10, v23
	v_bfe_u32 v23, v11, 20, 11
	v_and_b32_e32 v2, 0xffff, v2
	v_cndmask_b32_e64 v0, v0, v14, s0
	v_cmp_ne_u32_e64 s0, v12, v13
	v_cvt_f32_f16_e32 v14, v26
	v_and_or_b32 v0, 0x8000, v4, v0
	v_cndmask_b32_e64 v15, 0, 1, s0
	v_cmp_ne_u32_e64 s0, 0, v10
	v_cvt_f64_f32_e32 v[12:13], v14
	v_lshl_or_b32 v14, v20, 12, v6
	v_or_b32_e32 v4, v25, v15
	v_cndmask_b32_e64 v10, 0, 1, s0
	v_lshrrev_b32_e32 v15, 8, v11
	v_cmp_gt_i32_e64 s0, 1, v20
	v_and_or_b32 v10, 0xffe, v15, v10
	v_cndmask_b32_e64 v14, v14, v4, s0
	v_sub_nc_u32_e32 v4, 0x3f1, v23
	s_mul_i32 s0, s9, 0x21b
	v_add_nc_u32_e32 v23, 0xfffffc10, v23
	v_or_b32_e32 v25, 0x1000, v10
	v_and_b32_e32 v15, 7, v14
	v_med3_i32 v26, v4, 0, 13
	s_add_i32 s3, s1, s0
	s_lshl_b64 s[12:13], s[2:3], 2
	v_cmp_lt_i32_e64 s0, 5, v15
	v_lshrrev_b32_e32 v27, v26, v25
	v_cmp_eq_u32_e64 s1, 3, v15
	v_mul_f16_sdwa v15, v42, v5 dst_sel:DWORD dst_unused:UNUSED_PAD src0_sel:WORD_1 src1_sel:DWORD
	v_mul_f64 v[4:5], v[12:13], s[4:5]
	v_lshrrev_b32_e32 v12, 2, v14
	v_lshlrev_b32_e32 v14, v26, v27
	s_or_b32 s0, s1, s0
	v_fma_f16 v13, v42, v24, -v15
	v_lshl_or_b32 v24, v23, 12, v10
	v_add_co_ci_u32_e64 v15, s0, 0, v12, s0
	v_cmp_ne_u32_e64 s0, v14, v25
	v_cvt_f32_f16_e32 v12, v13
	v_cndmask_b32_e64 v14, 0, 1, s0
	v_cmp_ne_u32_e64 s0, 0, v6
	v_cvt_f64_f32_e32 v[12:13], v12
	v_or_b32_e32 v14, v27, v14
	v_cndmask_b32_e64 v6, 0, 1, s0
	v_cmp_gt_i32_e64 s0, 31, v20
	v_and_or_b32 v4, 0x1ff, v5, v4
	v_lshl_or_b32 v6, v6, 9, 0x7c00
	v_cndmask_b32_e64 v15, 0x7c00, v15, s0
	v_cmp_gt_i32_e64 s0, 1, v23
	v_cndmask_b32_e64 v14, v24, v14, s0
	v_cmp_eq_u32_e64 s0, 0x40f, v20
	v_lshl_or_b32 v24, v0, 16, v2
	v_lshrrev_b32_e32 v20, 16, v3
	v_and_b32_e32 v2, 7, v14
	v_cndmask_b32_e64 v0, v15, v6, s0
	v_cmp_ne_u32_e64 s0, 0, v4
	v_lshrrev_b32_e32 v6, 8, v5
	v_bfe_u32 v15, v5, 20, 11
	v_cmp_eq_u32_e64 s1, 3, v2
	v_mul_f64 v[12:13], v[12:13], s[4:5]
	v_cndmask_b32_e64 v4, 0, 1, s0
	v_cmp_lt_i32_e64 s0, 5, v2
	v_lshrrev_b32_e32 v2, 2, v14
	v_and_or_b32 v0, 0x8000, v7, v0
	v_lshrrev_b32_e32 v5, 16, v5
	v_and_or_b32 v4, 0xffe, v6, v4
	v_sub_nc_u32_e32 v6, 0x3f1, v15
	s_or_b32 s0, s1, s0
	v_and_b32_e32 v0, 0xffff, v0
	v_add_co_ci_u32_e64 v2, s0, 0, v2, s0
	v_cmp_ne_u32_e64 s0, 0, v10
	v_or_b32_e32 v14, 0x1000, v4
	v_med3_i32 v6, v6, 0, 13
	v_cndmask_b32_e64 v10, 0, 1, s0
	v_cmp_gt_i32_e64 s0, 31, v23
	v_lshrrev_b32_e32 v25, v6, v14
	v_lshl_or_b32 v10, v10, 9, 0x7c00
	v_cndmask_b32_e64 v2, 0x7c00, v2, s0
	v_cmp_eq_u32_e64 s0, 0x40f, v23
	v_lshlrev_b32_e32 v6, v6, v25
	v_and_or_b32 v7, 0x1ff, v13, v12
	v_add_nc_u32_e32 v12, 0xfffffc10, v15
	v_bfe_u32 v15, v13, 20, 11
	v_cndmask_b32_e64 v2, v2, v10, s0
	v_lshrrev_b32_e32 v10, 16, v11
	v_mul_f16_sdwa v11, v41, v20 dst_sel:DWORD dst_unused:UNUSED_PAD src0_sel:WORD_1 src1_sel:DWORD
	v_cmp_ne_u32_e64 s0, v6, v14
	v_lshrrev_b32_e32 v14, 8, v13
	v_lshl_or_b32 v23, v12, 12, v4
	v_and_or_b32 v2, 0x8000, v10, v2
	v_fmac_f16_e32 v11, v41, v3
	v_cndmask_b32_e64 v10, 0, 1, s0
	v_cmp_ne_u32_e64 s0, 0, v7
	v_mul_f16_sdwa v3, v41, v3 dst_sel:DWORD dst_unused:UNUSED_PAD src0_sel:WORD_1 src1_sel:DWORD
	v_lshl_or_b32 v27, v2, 16, v0
	v_cvt_f32_f16_e32 v6, v11
	v_or_b32_e32 v10, v25, v10
	v_cndmask_b32_e64 v11, 0, 1, s0
	v_cmp_gt_i32_e64 s0, 1, v12
	v_fma_f16 v3, v41, v20, -v3
	v_cvt_f64_f32_e32 v[6:7], v6
	v_lshrrev_b32_e32 v13, 16, v13
	v_and_or_b32 v14, 0xffe, v14, v11
	v_sub_nc_u32_e32 v11, 0x3f1, v15
	v_cndmask_b32_e64 v23, v23, v10, s0
	v_add_co_u32 v8, s0, v8, s12
	v_or_b32_e32 v25, 0x1000, v14
	v_med3_i32 v26, v11, 0, 13
	v_add_co_ci_u32_e64 v9, s0, s13, v9, s0
	v_and_b32_e32 v0, 7, v23
	v_add_co_u32 v10, s0, v8, s12
	v_lshrrev_b32_e32 v2, v26, v25
	v_add_co_ci_u32_e64 v11, s0, s13, v9, s0
	v_cmp_lt_i32_e64 s0, 5, v0
	v_cmp_eq_u32_e64 s1, 3, v0
	v_lshlrev_b32_e32 v26, v26, v2
	v_lshrrev_b32_e32 v0, 2, v23
	v_add_nc_u32_e32 v15, 0xfffffc10, v15
	v_mul_f64 v[6:7], v[6:7], s[4:5]
	s_or_b32 s0, s1, s0
	v_cmp_ne_u32_e64 s2, v26, v25
	v_add_co_ci_u32_e64 v0, s0, 0, v0, s0
	v_cmp_ne_u32_e64 s0, 0, v4
	v_lshrrev_b32_e32 v25, 16, v1
	v_cndmask_b32_e64 v23, 0, 1, s2
	v_cndmask_b32_e64 v4, 0, 1, s0
	v_cmp_gt_i32_e64 s0, 1, v15
	v_or_b32_e32 v2, v2, v23
	v_lshl_or_b32 v23, v15, 12, v14
	v_cndmask_b32_e64 v23, v23, v2, s0
	v_cmp_gt_i32_e64 s0, 31, v12
	v_lshl_or_b32 v2, v4, 9, 0x7c00
	v_and_or_b32 v6, 0x1ff, v7, v6
	v_and_b32_e32 v4, 7, v23
	v_cndmask_b32_e64 v0, 0x7c00, v0, s0
	v_cmp_eq_u32_e64 s0, 0x40f, v12
	v_lshrrev_b32_e32 v12, 8, v7
	v_cmp_ne_u32_e64 s1, 0, v6
	v_bfe_u32 v20, v7, 20, 11
	v_lshrrev_b32_e32 v7, 16, v7
	v_cndmask_b32_e64 v0, v0, v2, s0
	v_cvt_f32_f16_e32 v2, v3
	v_cmp_lt_i32_e64 s0, 5, v4
	v_cndmask_b32_e64 v6, 0, 1, s1
	v_cmp_eq_u32_e64 s1, 3, v4
	v_lshrrev_b32_e32 v4, 2, v23
	v_cvt_f64_f32_e32 v[2:3], v2
	v_mul_f16_sdwa v23, v40, v25 dst_sel:DWORD dst_unused:UNUSED_PAD src0_sel:WORD_1 src1_sel:DWORD
	v_and_or_b32 v6, 0xffe, v12, v6
	s_or_b32 s0, s1, s0
	v_sub_nc_u32_e32 v12, 0x3f1, v20
	v_add_co_ci_u32_e64 v4, s0, 0, v4, s0
	v_cmp_ne_u32_e64 s0, 0, v14
	v_fmac_f16_e32 v23, v40, v1
	v_or_b32_e32 v26, 0x1000, v6
	v_med3_i32 v12, v12, 0, 13
	v_and_or_b32 v0, 0x8000, v5, v0
	v_cndmask_b32_e64 v14, 0, 1, s0
	v_cmp_gt_i32_e64 s0, 31, v15
	v_mul_f16_sdwa v1, v40, v1 dst_sel:DWORD dst_unused:UNUSED_PAD src0_sel:WORD_1 src1_sel:DWORD
	v_lshrrev_b32_e32 v29, v12, v26
	s_mul_i32 s1, s9, 0xfffffcb1
	v_lshl_or_b32 v14, v14, 9, 0x7c00
	v_cndmask_b32_e64 v28, 0x7c00, v4, s0
	v_cvt_f32_f16_e32 v4, v23
	v_lshlrev_b32_e32 v12, v12, v29
	v_cmp_eq_u32_e64 s0, 0x40f, v15
	v_mul_f64 v[2:3], v[2:3], s[4:5]
	v_add_nc_u32_e32 v15, 0xfffffc10, v20
	v_cvt_f64_f32_e32 v[4:5], v4
	v_fma_f16 v1, v40, v25, -v1
	v_cndmask_b32_e64 v14, v28, v14, s0
	v_cmp_ne_u32_e64 s0, v12, v26
	v_cvt_f32_f16_e32 v1, v1
	v_and_or_b32 v13, 0x8000, v13, v14
	v_cndmask_b32_e64 v12, 0, 1, s0
	s_mul_hi_u32 s0, s8, 0xfffffcb1
	v_lshl_or_b32 v14, v15, 12, v6
	s_sub_i32 s2, s0, s8
	v_cmp_gt_i32_e64 s0, 1, v15
	v_or_b32_e32 v12, v29, v12
	s_add_i32 s3, s2, s1
	s_mul_i32 s2, s8, 0xfffffcb1
	s_lshl_b64 s[6:7], s[2:3], 2
	v_cndmask_b32_e64 v12, v14, v12, s0
	v_and_b32_e32 v14, 0xffff, v0
	v_and_or_b32 v2, 0x1ff, v3, v2
	v_cvt_f64_f32_e32 v[0:1], v1
	v_mul_f64 v[4:5], v[4:5], s[4:5]
	v_and_b32_e32 v20, 7, v12
	v_lshrrev_b32_e32 v23, 8, v3
	v_cmp_ne_u32_e64 s0, 0, v2
	v_bfe_u32 v25, v3, 20, 11
	v_lshrrev_b32_e32 v12, 2, v12
	v_cmp_eq_u32_e64 s1, 3, v20
	v_lshl_or_b32 v13, v13, 16, v14
	v_cndmask_b32_e64 v2, 0, 1, s0
	v_cmp_lt_i32_e64 s0, 5, v20
	v_sub_nc_u32_e32 v14, 0x3f1, v25
	v_lshrrev_b32_e32 v3, 16, v3
	v_and_or_b32 v2, 0xffe, v23, v2
	s_or_b32 s0, s1, s0
	v_med3_i32 v14, v14, 0, 13
	v_add_co_ci_u32_e64 v12, s0, 0, v12, s0
	v_or_b32_e32 v20, 0x1000, v2
	v_cmp_ne_u32_e64 s0, 0, v6
	v_mul_f64 v[0:1], v[0:1], s[4:5]
	v_and_or_b32 v4, 0x1ff, v5, v4
	v_lshrrev_b32_e32 v23, v14, v20
	v_cndmask_b32_e64 v6, 0, 1, s0
	v_cmp_gt_i32_e64 s0, 31, v15
	v_lshrrev_b32_e32 v26, 8, v5
	v_bfe_u32 v28, v5, 20, 11
	v_lshlrev_b32_e32 v14, v14, v23
	v_lshl_or_b32 v6, v6, 9, 0x7c00
	v_cndmask_b32_e64 v12, 0x7c00, v12, s0
	v_cmp_ne_u32_e64 s0, 0, v4
	v_lshrrev_b32_e32 v5, 16, v5
	v_cndmask_b32_e64 v4, 0, 1, s0
	v_cmp_ne_u32_e64 s0, v14, v20
	v_add_nc_u32_e32 v20, 0xfffffc10, v25
	v_sub_nc_u32_e32 v25, 0x3f1, v28
	v_and_or_b32 v4, 0xffe, v26, v4
	v_cndmask_b32_e64 v14, 0, 1, s0
	v_cmp_eq_u32_e64 s0, 0x40f, v15
	v_and_or_b32 v0, 0x1ff, v1, v0
	v_bfe_u32 v26, v1, 20, 11
	v_or_b32_e32 v15, 0x1000, v4
	v_cndmask_b32_e64 v6, v12, v6, s0
	v_or_b32_e32 v12, v23, v14
	v_lshl_or_b32 v14, v20, 12, v2
	v_med3_i32 v23, v25, 0, 13
	v_cmp_gt_i32_e64 s0, 1, v20
	v_lshrrev_b32_e32 v25, 8, v1
	v_and_or_b32 v6, 0x8000, v7, v6
	v_sub_nc_u32_e32 v7, 0x3f1, v26
	v_lshrrev_b32_e32 v1, 16, v1
	v_cndmask_b32_e64 v12, v14, v12, s0
	v_lshrrev_b32_e32 v14, v23, v15
	v_cmp_ne_u32_e64 s0, 0, v0
	v_med3_i32 v7, v7, 0, 13
	v_and_b32_e32 v6, 0xffff, v6
	v_and_b32_e32 v29, 7, v12
	v_lshlrev_b32_e32 v23, v23, v14
	v_cndmask_b32_e64 v0, 0, 1, s0
	v_lshrrev_b32_e32 v12, 2, v12
	v_cmp_lt_i32_e64 s0, 5, v29
	v_cmp_ne_u32_e64 s1, v23, v15
	v_and_or_b32 v0, 0xffe, v25, v0
	v_add_nc_u32_e32 v25, 0xfffffc10, v28
	v_cndmask_b32_e64 v15, 0, 1, s1
	v_cmp_eq_u32_e64 s1, 3, v29
	v_or_b32_e32 v23, 0x1000, v0
	v_lshl_or_b32 v28, v25, 12, v4
	v_or_b32_e32 v14, v14, v15
	s_or_b32 s0, s1, s0
	v_lshrrev_b32_e32 v15, v7, v23
	v_add_co_ci_u32_e64 v12, s0, 0, v12, s0
	v_cmp_gt_i32_e64 s0, 1, v25
	v_lshlrev_b32_e32 v7, v7, v15
	v_cndmask_b32_e64 v14, v28, v14, s0
	v_cmp_ne_u32_e64 s0, 0, v2
	v_cndmask_b32_e64 v2, 0, 1, s0
	v_cmp_ne_u32_e64 s0, v7, v23
	v_add_nc_u32_e32 v23, 0xfffffc10, v26
	v_and_b32_e32 v26, 7, v14
	v_lshl_or_b32 v2, v2, 9, 0x7c00
	v_cndmask_b32_e64 v7, 0, 1, s0
	v_cmp_gt_i32_e64 s0, 31, v20
	v_cmp_gt_i32_e64 s2, 1, v23
	v_cmp_eq_u32_e64 s1, 3, v26
	v_or_b32_e32 v7, v15, v7
	v_lshl_or_b32 v15, v23, 12, v0
	v_cndmask_b32_e64 v12, 0x7c00, v12, s0
	v_cmp_lt_i32_e64 s0, 5, v26
	v_cndmask_b32_e64 v7, v15, v7, s2
	v_cmp_eq_u32_e64 s2, 0x40f, v20
	s_or_b32 s0, s1, s0
	v_cndmask_b32_e64 v2, v12, v2, s2
	v_lshrrev_b32_e32 v12, 2, v14
	v_and_b32_e32 v14, 7, v7
	v_lshrrev_b32_e32 v7, 2, v7
	v_cmp_gt_i32_e64 s2, 31, v25
	v_add_co_ci_u32_e64 v12, s0, 0, v12, s0
	v_cmp_ne_u32_e64 s0, 0, v4
	v_cmp_eq_u32_e64 s1, 3, v14
	v_cndmask_b32_e64 v12, 0x7c00, v12, s2
	v_cndmask_b32_e64 v4, 0, 1, s0
	v_cmp_lt_i32_e64 s0, 5, v14
	v_lshl_or_b32 v4, v4, 9, 0x7c00
	s_or_b32 s0, s1, s0
	v_add_co_ci_u32_e64 v7, s0, 0, v7, s0
	v_cmp_ne_u32_e64 s0, 0, v0
	v_cndmask_b32_e64 v0, 0, 1, s0
	v_cmp_eq_u32_e64 s0, 0x40f, v25
	v_lshl_or_b32 v0, v0, 9, 0x7c00
	v_cndmask_b32_e64 v4, v12, v4, s0
	v_cmp_gt_i32_e64 s0, 31, v23
	v_and_or_b32 v12, 0x8000, v3, v2
	v_and_or_b32 v4, 0x8000, v5, v4
	v_cndmask_b32_e64 v7, 0x7c00, v7, s0
	v_cmp_eq_u32_e64 s0, 0x40f, v23
	v_lshl_or_b32 v6, v12, 16, v6
	v_cndmask_b32_e64 v0, v7, v0, s0
	v_add_co_u32 v2, s0, v10, s6
	v_add_co_ci_u32_e64 v3, s0, s7, v11, s0
	v_and_or_b32 v0, 0x8000, v1, v0
	v_and_b32_e32 v1, 0xffff, v4
	v_add_co_u32 v4, s0, v2, s12
	v_add_co_ci_u32_e64 v5, s0, s13, v3, s0
	v_lshl_or_b32 v7, v0, 16, v1
	v_add_co_u32 v0, s0, v4, s12
	v_add_co_ci_u32_e64 v1, s0, s13, v5, s0
	global_store_dword v[8:9], v24, off
	global_store_dword v[10:11], v27, off
	global_store_dword v[2:3], v13, off
	global_store_dword v[4:5], v6, off
	global_store_dword v[0:1], v7, off
	s_and_b32 exec_lo, exec_lo, vcc_lo
	s_cbranch_execz .LBB0_23
; %bb.22:
	s_clause 0x2
	global_load_dword v2, v[18:19], off offset:1848
	global_load_dword v4, v[16:17], off offset:1956
	global_load_dword v6, v[21:22], off offset:16
	ds_read_b32 v3, v39 offset:1848
	ds_read_b32 v5, v39 offset:4004
	;; [unrolled: 1-line block ×3, first 2 shown]
	v_add_co_u32 v0, vcc_lo, v0, s6
	v_add_co_ci_u32_e32 v1, vcc_lo, s7, v1, vcc_lo
	v_add_co_u32 v14, vcc_lo, v0, s12
	v_add_co_ci_u32_e32 v15, vcc_lo, s13, v1, vcc_lo
	s_waitcnt lgkmcnt(2)
	v_lshrrev_b32_e32 v8, 16, v3
	s_waitcnt lgkmcnt(1)
	v_lshrrev_b32_e32 v10, 16, v5
	;; [unrolled: 2-line block ×3, first 2 shown]
	s_waitcnt vmcnt(2)
	v_mul_f16_sdwa v9, v8, v2 dst_sel:DWORD dst_unused:UNUSED_PAD src0_sel:DWORD src1_sel:WORD_1
	v_mul_f16_sdwa v11, v3, v2 dst_sel:DWORD dst_unused:UNUSED_PAD src0_sel:DWORD src1_sel:WORD_1
	s_waitcnt vmcnt(1)
	v_mul_f16_sdwa v13, v10, v4 dst_sel:DWORD dst_unused:UNUSED_PAD src0_sel:DWORD src1_sel:WORD_1
	v_fmac_f16_e32 v9, v3, v2
	v_fma_f16 v2, v2, v8, -v11
	v_mul_f16_sdwa v8, v5, v4 dst_sel:DWORD dst_unused:UNUSED_PAD src0_sel:DWORD src1_sel:WORD_1
	v_fmac_f16_e32 v13, v5, v4
	v_cvt_f32_f16_e32 v3, v9
	v_cvt_f32_f16_e32 v5, v2
	s_waitcnt vmcnt(0)
	v_mul_f16_sdwa v9, v12, v6 dst_sel:DWORD dst_unused:UNUSED_PAD src0_sel:DWORD src1_sel:WORD_1
	v_fma_f16 v8, v4, v10, -v8
	v_mul_f16_sdwa v10, v7, v6 dst_sel:DWORD dst_unused:UNUSED_PAD src0_sel:DWORD src1_sel:WORD_1
	v_cvt_f64_f32_e32 v[2:3], v3
	v_cvt_f32_f16_e32 v11, v13
	v_cvt_f64_f32_e32 v[4:5], v5
	v_fmac_f16_e32 v9, v7, v6
	v_cvt_f32_f16_e32 v8, v8
	v_fma_f16 v10, v6, v12, -v10
	v_cvt_f64_f32_e32 v[6:7], v11
	v_cvt_f32_f16_e32 v11, v9
	v_cvt_f64_f32_e32 v[8:9], v8
	v_cvt_f32_f16_e32 v12, v10
	v_cvt_f64_f32_e32 v[10:11], v11
	v_cvt_f64_f32_e32 v[12:13], v12
	v_mul_f64 v[2:3], v[2:3], s[4:5]
	v_mul_f64 v[4:5], v[4:5], s[4:5]
	;; [unrolled: 1-line block ×6, first 2 shown]
	v_and_or_b32 v2, 0x1ff, v3, v2
	v_lshrrev_b32_e32 v16, 8, v3
	v_and_or_b32 v4, 0x1ff, v5, v4
	v_bfe_u32 v17, v3, 20, 11
	v_lshrrev_b32_e32 v18, 8, v5
	v_cmp_ne_u32_e32 vcc_lo, 0, v2
	v_and_or_b32 v6, 0x1ff, v7, v6
	v_bfe_u32 v19, v5, 20, 11
	v_lshrrev_b32_e32 v20, 8, v7
	v_and_or_b32 v8, 0x1ff, v9, v8
	v_cndmask_b32_e64 v2, 0, 1, vcc_lo
	v_cmp_ne_u32_e32 vcc_lo, 0, v4
	v_bfe_u32 v21, v7, 20, 11
	v_and_or_b32 v10, 0x1ff, v11, v10
	v_bfe_u32 v23, v9, 20, 11
	v_and_or_b32 v12, 0x1ff, v13, v12
	v_cndmask_b32_e64 v4, 0, 1, vcc_lo
	v_cmp_ne_u32_e32 vcc_lo, 0, v6
	v_and_or_b32 v2, 0xffe, v16, v2
	v_sub_nc_u32_e32 v28, 0x3f1, v17
	v_add_nc_u32_e32 v17, 0xfffffc10, v17
	v_sub_nc_u32_e32 v29, 0x3f1, v19
	v_cndmask_b32_e64 v6, 0, 1, vcc_lo
	v_cmp_ne_u32_e32 vcc_lo, 0, v8
	v_and_or_b32 v4, 0xffe, v18, v4
	v_lshrrev_b32_e32 v22, 8, v9
	v_bfe_u32 v25, v11, 20, 11
	v_bfe_u32 v27, v13, 20, 11
	v_cndmask_b32_e64 v8, 0, 1, vcc_lo
	v_cmp_ne_u32_e32 vcc_lo, 0, v10
	v_add_nc_u32_e32 v19, 0xfffffc10, v19
	v_sub_nc_u32_e32 v30, 0x3f1, v21
	v_sub_nc_u32_e32 v31, 0x3f1, v23
	v_med3_i32 v16, v28, 0, 13
	v_cndmask_b32_e64 v10, 0, 1, vcc_lo
	v_cmp_ne_u32_e32 vcc_lo, 0, v12
	v_med3_i32 v18, v29, 0, 13
	v_and_or_b32 v6, 0xffe, v20, v6
	v_or_b32_e32 v28, 0x1000, v2
	v_lshl_or_b32 v29, v17, 12, v2
	v_cndmask_b32_e64 v12, 0, 1, vcc_lo
	v_cmp_ne_u32_e32 vcc_lo, 0, v2
	v_lshrrev_b32_e32 v24, 8, v11
	v_lshrrev_b32_e32 v26, 8, v13
	v_add_nc_u32_e32 v21, 0xfffffc10, v21
	v_sub_nc_u32_e32 v32, 0x3f1, v25
	v_cndmask_b32_e64 v2, 0, 1, vcc_lo
	v_cmp_ne_u32_e32 vcc_lo, 0, v4
	v_sub_nc_u32_e32 v33, 0x3f1, v27
	v_med3_i32 v20, v30, 0, 13
	v_and_or_b32 v8, 0xffe, v22, v8
	v_med3_i32 v22, v31, 0, 13
	v_or_b32_e32 v30, 0x1000, v4
	v_lshl_or_b32 v31, v19, 12, v4
	v_cndmask_b32_e64 v4, 0, 1, vcc_lo
	v_cmp_ne_u32_e32 vcc_lo, 0, v6
	v_add_nc_u32_e32 v23, 0xfffffc10, v23
	v_and_or_b32 v10, 0xffe, v24, v10
	v_med3_i32 v24, v32, 0, 13
	v_and_or_b32 v12, 0xffe, v26, v12
	v_med3_i32 v26, v33, 0, 13
	v_or_b32_e32 v32, 0x1000, v6
	v_lshl_or_b32 v33, v21, 12, v6
	v_cndmask_b32_e64 v6, 0, 1, vcc_lo
	v_cmp_ne_u32_e32 vcc_lo, 0, v8
	v_add_nc_u32_e32 v25, 0xfffffc10, v25
	v_or_b32_e32 v34, 0x1000, v8
	v_lshl_or_b32 v35, v23, 12, v8
	v_lshrrev_b32_e32 v40, v16, v28
	v_cndmask_b32_e64 v8, 0, 1, vcc_lo
	v_cmp_ne_u32_e32 vcc_lo, 0, v10
	v_add_nc_u32_e32 v27, 0xfffffc10, v27
	v_or_b32_e32 v36, 0x1000, v10
	v_lshl_or_b32 v37, v25, 12, v10
	v_lshrrev_b32_e32 v41, v18, v30
	v_cndmask_b32_e64 v10, 0, 1, vcc_lo
	v_cmp_ne_u32_e32 vcc_lo, 0, v12
	v_lshlrev_b32_e32 v16, v16, v40
	v_or_b32_e32 v38, 0x1000, v12
	v_lshl_or_b32 v39, v27, 12, v12
	v_lshrrev_b32_e32 v42, v20, v32
	v_cndmask_b32_e64 v12, 0, 1, vcc_lo
	v_lshlrev_b32_e32 v18, v18, v41
	v_cmp_ne_u32_e32 vcc_lo, v16, v28
	v_lshrrev_b32_e32 v43, v22, v34
	v_lshlrev_b32_e32 v20, v20, v42
	v_lshrrev_b32_e32 v44, v24, v36
	v_lshrrev_b32_e32 v45, v26, v38
	v_cndmask_b32_e64 v16, 0, 1, vcc_lo
	v_cmp_ne_u32_e32 vcc_lo, v18, v30
	v_lshlrev_b32_e32 v22, v22, v43
	v_lshlrev_b32_e32 v24, v24, v44
	;; [unrolled: 1-line block ×3, first 2 shown]
	v_or_b32_e32 v16, v40, v16
	v_cndmask_b32_e64 v18, 0, 1, vcc_lo
	v_cmp_ne_u32_e32 vcc_lo, v20, v32
	v_lshl_or_b32 v2, v2, 9, 0x7c00
	v_lshl_or_b32 v4, v4, 9, 0x7c00
	;; [unrolled: 1-line block ×3, first 2 shown]
	v_or_b32_e32 v18, v41, v18
	v_cndmask_b32_e64 v20, 0, 1, vcc_lo
	v_cmp_ne_u32_e32 vcc_lo, v22, v34
	v_lshl_or_b32 v8, v8, 9, 0x7c00
	v_lshl_or_b32 v10, v10, 9, 0x7c00
	v_lshrrev_b32_e32 v3, 16, v3
	v_or_b32_e32 v20, v42, v20
	v_cndmask_b32_e64 v22, 0, 1, vcc_lo
	v_cmp_ne_u32_e32 vcc_lo, v24, v36
	v_lshrrev_b32_e32 v7, 16, v7
	v_lshrrev_b32_e32 v5, 16, v5
	;; [unrolled: 1-line block ×3, first 2 shown]
	v_or_b32_e32 v22, v43, v22
	v_cndmask_b32_e64 v24, 0, 1, vcc_lo
	v_cmp_ne_u32_e32 vcc_lo, v26, v38
	v_lshl_or_b32 v12, v12, 9, 0x7c00
	v_lshrrev_b32_e32 v9, 16, v9
	v_lshrrev_b32_e32 v13, 16, v13
	v_or_b32_e32 v24, v44, v24
	v_cndmask_b32_e64 v26, 0, 1, vcc_lo
	v_cmp_gt_i32_e32 vcc_lo, 1, v17
	v_or_b32_e32 v26, v45, v26
	v_cndmask_b32_e32 v16, v29, v16, vcc_lo
	v_cmp_gt_i32_e32 vcc_lo, 1, v19
	v_and_b32_e32 v28, 7, v16
	v_cndmask_b32_e32 v18, v31, v18, vcc_lo
	v_cmp_gt_i32_e32 vcc_lo, 1, v21
	v_lshrrev_b32_e32 v16, 2, v16
	v_cmp_eq_u32_e64 s0, 3, v28
	v_and_b32_e32 v29, 7, v18
	v_cndmask_b32_e32 v20, v33, v20, vcc_lo
	v_cmp_gt_i32_e32 vcc_lo, 1, v23
	v_lshrrev_b32_e32 v18, 2, v18
	v_cmp_lt_i32_e64 s1, 5, v29
	v_and_b32_e32 v30, 7, v20
	v_cndmask_b32_e32 v22, v35, v22, vcc_lo
	v_cmp_gt_i32_e32 vcc_lo, 1, v25
	v_cmp_eq_u32_e64 s2, 3, v29
	v_lshrrev_b32_e32 v20, 2, v20
	v_cmp_lt_i32_e64 s3, 5, v30
	v_and_b32_e32 v31, 7, v22
	v_cndmask_b32_e32 v24, v37, v24, vcc_lo
	v_cmp_gt_i32_e32 vcc_lo, 1, v27
	v_cmp_eq_u32_e64 s4, 3, v30
	v_lshrrev_b32_e32 v22, 2, v22
	v_cmp_lt_i32_e64 s5, 5, v31
	v_and_b32_e32 v32, 7, v24
	v_cndmask_b32_e32 v26, v39, v26, vcc_lo
	v_cmp_lt_i32_e32 vcc_lo, 5, v28
	v_cmp_eq_u32_e64 s6, 3, v31
	v_lshrrev_b32_e32 v24, 2, v24
	v_cmp_lt_i32_e64 s7, 5, v32
	v_and_b32_e32 v33, 7, v26
	s_or_b32 vcc_lo, s0, vcc_lo
	v_cmp_eq_u32_e64 s8, 3, v32
	v_add_co_ci_u32_e32 v16, vcc_lo, 0, v16, vcc_lo
	s_or_b32 vcc_lo, s2, s1
	v_cmp_lt_i32_e64 s9, 5, v33
	v_add_co_ci_u32_e32 v18, vcc_lo, 0, v18, vcc_lo
	s_or_b32 vcc_lo, s4, s3
	v_cmp_eq_u32_e64 s10, 3, v33
	v_add_co_ci_u32_e32 v20, vcc_lo, 0, v20, vcc_lo
	s_or_b32 vcc_lo, s6, s5
	v_lshrrev_b32_e32 v26, 2, v26
	v_add_co_ci_u32_e32 v22, vcc_lo, 0, v22, vcc_lo
	s_or_b32 vcc_lo, s8, s7
	v_add_co_ci_u32_e32 v24, vcc_lo, 0, v24, vcc_lo
	s_or_b32 vcc_lo, s10, s9
	v_add_co_ci_u32_e32 v26, vcc_lo, 0, v26, vcc_lo
	v_cmp_gt_i32_e32 vcc_lo, 31, v17
	v_cndmask_b32_e32 v16, 0x7c00, v16, vcc_lo
	v_cmp_gt_i32_e32 vcc_lo, 31, v19
	v_cndmask_b32_e32 v18, 0x7c00, v18, vcc_lo
	v_cmp_gt_i32_e32 vcc_lo, 31, v21
	v_cndmask_b32_e32 v20, 0x7c00, v20, vcc_lo
	v_cmp_gt_i32_e32 vcc_lo, 31, v23
	v_cndmask_b32_e32 v22, 0x7c00, v22, vcc_lo
	v_cmp_gt_i32_e32 vcc_lo, 31, v25
	v_cndmask_b32_e32 v24, 0x7c00, v24, vcc_lo
	v_cmp_gt_i32_e32 vcc_lo, 31, v27
	v_cndmask_b32_e32 v26, 0x7c00, v26, vcc_lo
	v_cmp_eq_u32_e32 vcc_lo, 0x40f, v17
	v_cndmask_b32_e32 v2, v16, v2, vcc_lo
	v_cmp_eq_u32_e32 vcc_lo, 0x40f, v19
	v_and_or_b32 v2, 0x8000, v3, v2
	v_cndmask_b32_e32 v4, v18, v4, vcc_lo
	v_cmp_eq_u32_e32 vcc_lo, 0x40f, v21
	v_and_or_b32 v4, 0x8000, v5, v4
	;; [unrolled: 3-line block ×4, first 2 shown]
	v_cndmask_b32_e32 v10, v24, v10, vcc_lo
	v_cmp_eq_u32_e32 vcc_lo, 0x40f, v27
	v_and_b32_e32 v8, 0xffff, v2
	v_and_b32_e32 v9, 0xffff, v3
	v_and_or_b32 v5, 0x8000, v11, v10
	v_cndmask_b32_e32 v12, v26, v12, vcc_lo
	v_add_co_u32 v2, vcc_lo, v14, s12
	v_lshl_or_b32 v4, v4, 16, v8
	v_and_b32_e32 v5, 0xffff, v5
	v_and_or_b32 v7, 0x8000, v13, v12
	v_lshl_or_b32 v6, v6, 16, v9
	v_add_co_ci_u32_e32 v3, vcc_lo, s13, v15, vcc_lo
	v_lshl_or_b32 v5, v7, 16, v5
	global_store_dword v[0:1], v4, off
	global_store_dword v[14:15], v6, off
	;; [unrolled: 1-line block ×3, first 2 shown]
.LBB0_23:
	s_endpgm
	.section	.rodata,"a",@progbits
	.p2align	6, 0x0
	.amdhsa_kernel bluestein_single_fwd_len1617_dim1_half_op_CI_CI
		.amdhsa_group_segment_fixed_size 6468
		.amdhsa_private_segment_fixed_size 0
		.amdhsa_kernarg_size 104
		.amdhsa_user_sgpr_count 6
		.amdhsa_user_sgpr_private_segment_buffer 1
		.amdhsa_user_sgpr_dispatch_ptr 0
		.amdhsa_user_sgpr_queue_ptr 0
		.amdhsa_user_sgpr_kernarg_segment_ptr 1
		.amdhsa_user_sgpr_dispatch_id 0
		.amdhsa_user_sgpr_flat_scratch_init 0
		.amdhsa_user_sgpr_private_segment_size 0
		.amdhsa_wavefront_size32 1
		.amdhsa_uses_dynamic_stack 0
		.amdhsa_system_sgpr_private_segment_wavefront_offset 0
		.amdhsa_system_sgpr_workgroup_id_x 1
		.amdhsa_system_sgpr_workgroup_id_y 0
		.amdhsa_system_sgpr_workgroup_id_z 0
		.amdhsa_system_sgpr_workgroup_info 0
		.amdhsa_system_vgpr_workitem_id 0
		.amdhsa_next_free_vgpr 172
		.amdhsa_next_free_sgpr 16
		.amdhsa_reserve_vcc 1
		.amdhsa_reserve_flat_scratch 0
		.amdhsa_float_round_mode_32 0
		.amdhsa_float_round_mode_16_64 0
		.amdhsa_float_denorm_mode_32 3
		.amdhsa_float_denorm_mode_16_64 3
		.amdhsa_dx10_clamp 1
		.amdhsa_ieee_mode 1
		.amdhsa_fp16_overflow 0
		.amdhsa_workgroup_processor_mode 1
		.amdhsa_memory_ordered 1
		.amdhsa_forward_progress 0
		.amdhsa_shared_vgpr_count 0
		.amdhsa_exception_fp_ieee_invalid_op 0
		.amdhsa_exception_fp_denorm_src 0
		.amdhsa_exception_fp_ieee_div_zero 0
		.amdhsa_exception_fp_ieee_overflow 0
		.amdhsa_exception_fp_ieee_underflow 0
		.amdhsa_exception_fp_ieee_inexact 0
		.amdhsa_exception_int_div_zero 0
	.end_amdhsa_kernel
	.text
.Lfunc_end0:
	.size	bluestein_single_fwd_len1617_dim1_half_op_CI_CI, .Lfunc_end0-bluestein_single_fwd_len1617_dim1_half_op_CI_CI
                                        ; -- End function
	.section	.AMDGPU.csdata,"",@progbits
; Kernel info:
; codeLenInByte = 17288
; NumSgprs: 18
; NumVgprs: 172
; ScratchSize: 0
; MemoryBound: 0
; FloatMode: 240
; IeeeMode: 1
; LDSByteSize: 6468 bytes/workgroup (compile time only)
; SGPRBlocks: 2
; VGPRBlocks: 21
; NumSGPRsForWavesPerEU: 18
; NumVGPRsForWavesPerEU: 172
; Occupancy: 5
; WaveLimiterHint : 1
; COMPUTE_PGM_RSRC2:SCRATCH_EN: 0
; COMPUTE_PGM_RSRC2:USER_SGPR: 6
; COMPUTE_PGM_RSRC2:TRAP_HANDLER: 0
; COMPUTE_PGM_RSRC2:TGID_X_EN: 1
; COMPUTE_PGM_RSRC2:TGID_Y_EN: 0
; COMPUTE_PGM_RSRC2:TGID_Z_EN: 0
; COMPUTE_PGM_RSRC2:TIDIG_COMP_CNT: 0
	.text
	.p2alignl 6, 3214868480
	.fill 48, 4, 3214868480
	.type	__hip_cuid_73d258edced5a037,@object ; @__hip_cuid_73d258edced5a037
	.section	.bss,"aw",@nobits
	.globl	__hip_cuid_73d258edced5a037
__hip_cuid_73d258edced5a037:
	.byte	0                               ; 0x0
	.size	__hip_cuid_73d258edced5a037, 1

	.ident	"AMD clang version 19.0.0git (https://github.com/RadeonOpenCompute/llvm-project roc-6.4.0 25133 c7fe45cf4b819c5991fe208aaa96edf142730f1d)"
	.section	".note.GNU-stack","",@progbits
	.addrsig
	.addrsig_sym __hip_cuid_73d258edced5a037
	.amdgpu_metadata
---
amdhsa.kernels:
  - .args:
      - .actual_access:  read_only
        .address_space:  global
        .offset:         0
        .size:           8
        .value_kind:     global_buffer
      - .actual_access:  read_only
        .address_space:  global
        .offset:         8
        .size:           8
        .value_kind:     global_buffer
      - .actual_access:  read_only
        .address_space:  global
        .offset:         16
        .size:           8
        .value_kind:     global_buffer
      - .actual_access:  read_only
        .address_space:  global
        .offset:         24
        .size:           8
        .value_kind:     global_buffer
      - .actual_access:  read_only
        .address_space:  global
        .offset:         32
        .size:           8
        .value_kind:     global_buffer
      - .offset:         40
        .size:           8
        .value_kind:     by_value
      - .address_space:  global
        .offset:         48
        .size:           8
        .value_kind:     global_buffer
      - .address_space:  global
        .offset:         56
        .size:           8
        .value_kind:     global_buffer
      - .address_space:  global
        .offset:         64
        .size:           8
        .value_kind:     global_buffer
      - .address_space:  global
        .offset:         72
        .size:           8
        .value_kind:     global_buffer
      - .offset:         80
        .size:           4
        .value_kind:     by_value
      - .address_space:  global
        .offset:         88
        .size:           8
        .value_kind:     global_buffer
      - .address_space:  global
        .offset:         96
        .size:           8
        .value_kind:     global_buffer
    .group_segment_fixed_size: 6468
    .kernarg_segment_align: 8
    .kernarg_segment_size: 104
    .language:       OpenCL C
    .language_version:
      - 2
      - 0
    .max_flat_workgroup_size: 231
    .name:           bluestein_single_fwd_len1617_dim1_half_op_CI_CI
    .private_segment_fixed_size: 0
    .sgpr_count:     18
    .sgpr_spill_count: 0
    .symbol:         bluestein_single_fwd_len1617_dim1_half_op_CI_CI.kd
    .uniform_work_group_size: 1
    .uses_dynamic_stack: false
    .vgpr_count:     172
    .vgpr_spill_count: 0
    .wavefront_size: 32
    .workgroup_processor_mode: 1
amdhsa.target:   amdgcn-amd-amdhsa--gfx1030
amdhsa.version:
  - 1
  - 2
...

	.end_amdgpu_metadata
